;; amdgpu-corpus repo=ROCm/rocFFT kind=compiled arch=gfx906 opt=O3
	.text
	.amdgcn_target "amdgcn-amd-amdhsa--gfx906"
	.amdhsa_code_object_version 6
	.protected	fft_rtc_fwd_len1925_factors_7_11_5_5_wgs_55_tpt_55_halfLds_half_ip_CI_sbrr_dirReg ; -- Begin function fft_rtc_fwd_len1925_factors_7_11_5_5_wgs_55_tpt_55_halfLds_half_ip_CI_sbrr_dirReg
	.globl	fft_rtc_fwd_len1925_factors_7_11_5_5_wgs_55_tpt_55_halfLds_half_ip_CI_sbrr_dirReg
	.p2align	8
	.type	fft_rtc_fwd_len1925_factors_7_11_5_5_wgs_55_tpt_55_halfLds_half_ip_CI_sbrr_dirReg,@function
fft_rtc_fwd_len1925_factors_7_11_5_5_wgs_55_tpt_55_halfLds_half_ip_CI_sbrr_dirReg: ; @fft_rtc_fwd_len1925_factors_7_11_5_5_wgs_55_tpt_55_halfLds_half_ip_CI_sbrr_dirReg
; %bb.0:
	s_load_dwordx2 s[14:15], s[4:5], 0x18
	s_load_dwordx4 s[8:11], s[4:5], 0x0
	s_load_dwordx2 s[12:13], s[4:5], 0x50
	v_mul_u32_u24_e32 v1, 0x4a8, v0
	v_add_u32_sdwa v5, s6, v1 dst_sel:DWORD dst_unused:UNUSED_PAD src0_sel:DWORD src1_sel:WORD_1
	s_waitcnt lgkmcnt(0)
	s_load_dwordx2 s[2:3], s[14:15], 0x0
	v_cmp_lt_u64_e64 s[0:1], s[10:11], 2
	v_mov_b32_e32 v3, 0
	v_mov_b32_e32 v1, 0
	;; [unrolled: 1-line block ×3, first 2 shown]
	s_and_b64 vcc, exec, s[0:1]
	v_mov_b32_e32 v2, 0
	s_cbranch_vccnz .LBB0_8
; %bb.1:
	s_load_dwordx2 s[0:1], s[4:5], 0x10
	s_add_u32 s6, s14, 8
	s_addc_u32 s7, s15, 0
	v_mov_b32_e32 v1, 0
	v_mov_b32_e32 v2, 0
	s_waitcnt lgkmcnt(0)
	s_add_u32 s16, s0, 8
	s_addc_u32 s17, s1, 0
	s_mov_b64 s[18:19], 1
.LBB0_2:                                ; =>This Inner Loop Header: Depth=1
	s_load_dwordx2 s[20:21], s[16:17], 0x0
                                        ; implicit-def: $vgpr7_vgpr8
	s_waitcnt lgkmcnt(0)
	v_or_b32_e32 v4, s21, v6
	v_cmp_ne_u64_e32 vcc, 0, v[3:4]
	s_and_saveexec_b64 s[0:1], vcc
	s_xor_b64 s[22:23], exec, s[0:1]
	s_cbranch_execz .LBB0_4
; %bb.3:                                ;   in Loop: Header=BB0_2 Depth=1
	v_cvt_f32_u32_e32 v4, s20
	v_cvt_f32_u32_e32 v7, s21
	s_sub_u32 s0, 0, s20
	s_subb_u32 s1, 0, s21
	v_mac_f32_e32 v4, 0x4f800000, v7
	v_rcp_f32_e32 v4, v4
	v_mul_f32_e32 v4, 0x5f7ffffc, v4
	v_mul_f32_e32 v7, 0x2f800000, v4
	v_trunc_f32_e32 v7, v7
	v_mac_f32_e32 v4, 0xcf800000, v7
	v_cvt_u32_f32_e32 v7, v7
	v_cvt_u32_f32_e32 v4, v4
	v_mul_lo_u32 v8, s0, v7
	v_mul_hi_u32 v9, s0, v4
	v_mul_lo_u32 v11, s1, v4
	v_mul_lo_u32 v10, s0, v4
	v_add_u32_e32 v8, v9, v8
	v_add_u32_e32 v8, v8, v11
	v_mul_hi_u32 v9, v4, v10
	v_mul_lo_u32 v11, v4, v8
	v_mul_hi_u32 v13, v4, v8
	v_mul_hi_u32 v12, v7, v10
	v_mul_lo_u32 v10, v7, v10
	v_mul_hi_u32 v14, v7, v8
	v_add_co_u32_e32 v9, vcc, v9, v11
	v_addc_co_u32_e32 v11, vcc, 0, v13, vcc
	v_mul_lo_u32 v8, v7, v8
	v_add_co_u32_e32 v9, vcc, v9, v10
	v_addc_co_u32_e32 v9, vcc, v11, v12, vcc
	v_addc_co_u32_e32 v10, vcc, 0, v14, vcc
	v_add_co_u32_e32 v8, vcc, v9, v8
	v_addc_co_u32_e32 v9, vcc, 0, v10, vcc
	v_add_co_u32_e32 v4, vcc, v4, v8
	v_addc_co_u32_e32 v7, vcc, v7, v9, vcc
	v_mul_lo_u32 v8, s0, v7
	v_mul_hi_u32 v9, s0, v4
	v_mul_lo_u32 v10, s1, v4
	v_mul_lo_u32 v11, s0, v4
	v_add_u32_e32 v8, v9, v8
	v_add_u32_e32 v8, v8, v10
	v_mul_lo_u32 v12, v4, v8
	v_mul_hi_u32 v13, v4, v11
	v_mul_hi_u32 v14, v4, v8
	;; [unrolled: 1-line block ×3, first 2 shown]
	v_mul_lo_u32 v11, v7, v11
	v_mul_hi_u32 v9, v7, v8
	v_add_co_u32_e32 v12, vcc, v13, v12
	v_addc_co_u32_e32 v13, vcc, 0, v14, vcc
	v_mul_lo_u32 v8, v7, v8
	v_add_co_u32_e32 v11, vcc, v12, v11
	v_addc_co_u32_e32 v10, vcc, v13, v10, vcc
	v_addc_co_u32_e32 v9, vcc, 0, v9, vcc
	v_add_co_u32_e32 v8, vcc, v10, v8
	v_addc_co_u32_e32 v9, vcc, 0, v9, vcc
	v_add_co_u32_e32 v4, vcc, v4, v8
	v_addc_co_u32_e32 v9, vcc, v7, v9, vcc
	v_mad_u64_u32 v[7:8], s[0:1], v5, v9, 0
	v_mul_hi_u32 v10, v5, v4
	v_add_co_u32_e32 v11, vcc, v10, v7
	v_addc_co_u32_e32 v12, vcc, 0, v8, vcc
	v_mad_u64_u32 v[7:8], s[0:1], v6, v4, 0
	v_mad_u64_u32 v[9:10], s[0:1], v6, v9, 0
	v_add_co_u32_e32 v4, vcc, v11, v7
	v_addc_co_u32_e32 v4, vcc, v12, v8, vcc
	v_addc_co_u32_e32 v7, vcc, 0, v10, vcc
	v_add_co_u32_e32 v4, vcc, v4, v9
	v_addc_co_u32_e32 v9, vcc, 0, v7, vcc
	v_mul_lo_u32 v10, s21, v4
	v_mul_lo_u32 v11, s20, v9
	v_mad_u64_u32 v[7:8], s[0:1], s20, v4, 0
	v_add3_u32 v8, v8, v11, v10
	v_sub_u32_e32 v10, v6, v8
	v_mov_b32_e32 v11, s21
	v_sub_co_u32_e32 v7, vcc, v5, v7
	v_subb_co_u32_e64 v10, s[0:1], v10, v11, vcc
	v_subrev_co_u32_e64 v11, s[0:1], s20, v7
	v_subbrev_co_u32_e64 v10, s[0:1], 0, v10, s[0:1]
	v_cmp_le_u32_e64 s[0:1], s21, v10
	v_cndmask_b32_e64 v12, 0, -1, s[0:1]
	v_cmp_le_u32_e64 s[0:1], s20, v11
	v_cndmask_b32_e64 v11, 0, -1, s[0:1]
	v_cmp_eq_u32_e64 s[0:1], s21, v10
	v_cndmask_b32_e64 v10, v12, v11, s[0:1]
	v_add_co_u32_e64 v11, s[0:1], 2, v4
	v_addc_co_u32_e64 v12, s[0:1], 0, v9, s[0:1]
	v_add_co_u32_e64 v13, s[0:1], 1, v4
	v_addc_co_u32_e64 v14, s[0:1], 0, v9, s[0:1]
	v_subb_co_u32_e32 v8, vcc, v6, v8, vcc
	v_cmp_ne_u32_e64 s[0:1], 0, v10
	v_cmp_le_u32_e32 vcc, s21, v8
	v_cndmask_b32_e64 v10, v14, v12, s[0:1]
	v_cndmask_b32_e64 v12, 0, -1, vcc
	v_cmp_le_u32_e32 vcc, s20, v7
	v_cndmask_b32_e64 v7, 0, -1, vcc
	v_cmp_eq_u32_e32 vcc, s21, v8
	v_cndmask_b32_e32 v7, v12, v7, vcc
	v_cmp_ne_u32_e32 vcc, 0, v7
	v_cndmask_b32_e64 v7, v13, v11, s[0:1]
	v_cndmask_b32_e32 v8, v9, v10, vcc
	v_cndmask_b32_e32 v7, v4, v7, vcc
.LBB0_4:                                ;   in Loop: Header=BB0_2 Depth=1
	s_andn2_saveexec_b64 s[0:1], s[22:23]
	s_cbranch_execz .LBB0_6
; %bb.5:                                ;   in Loop: Header=BB0_2 Depth=1
	v_cvt_f32_u32_e32 v4, s20
	s_sub_i32 s22, 0, s20
	v_rcp_iflag_f32_e32 v4, v4
	v_mul_f32_e32 v4, 0x4f7ffffe, v4
	v_cvt_u32_f32_e32 v4, v4
	v_mul_lo_u32 v7, s22, v4
	v_mul_hi_u32 v7, v4, v7
	v_add_u32_e32 v4, v4, v7
	v_mul_hi_u32 v4, v5, v4
	v_mul_lo_u32 v7, v4, s20
	v_add_u32_e32 v8, 1, v4
	v_sub_u32_e32 v7, v5, v7
	v_subrev_u32_e32 v9, s20, v7
	v_cmp_le_u32_e32 vcc, s20, v7
	v_cndmask_b32_e32 v7, v7, v9, vcc
	v_cndmask_b32_e32 v4, v4, v8, vcc
	v_add_u32_e32 v8, 1, v4
	v_cmp_le_u32_e32 vcc, s20, v7
	v_cndmask_b32_e32 v7, v4, v8, vcc
	v_mov_b32_e32 v8, v3
.LBB0_6:                                ;   in Loop: Header=BB0_2 Depth=1
	s_or_b64 exec, exec, s[0:1]
	v_mul_lo_u32 v4, v8, s20
	v_mul_lo_u32 v11, v7, s21
	v_mad_u64_u32 v[9:10], s[0:1], v7, s20, 0
	s_load_dwordx2 s[0:1], s[6:7], 0x0
	s_add_u32 s18, s18, 1
	v_add3_u32 v4, v10, v11, v4
	v_sub_co_u32_e32 v5, vcc, v5, v9
	v_subb_co_u32_e32 v4, vcc, v6, v4, vcc
	s_waitcnt lgkmcnt(0)
	v_mul_lo_u32 v4, s0, v4
	v_mul_lo_u32 v6, s1, v5
	v_mad_u64_u32 v[1:2], s[0:1], s0, v5, v[1:2]
	s_addc_u32 s19, s19, 0
	s_add_u32 s6, s6, 8
	v_add3_u32 v2, v6, v2, v4
	v_mov_b32_e32 v4, s10
	v_mov_b32_e32 v5, s11
	s_addc_u32 s7, s7, 0
	v_cmp_ge_u64_e32 vcc, s[18:19], v[4:5]
	s_add_u32 s16, s16, 8
	s_addc_u32 s17, s17, 0
	s_cbranch_vccnz .LBB0_9
; %bb.7:                                ;   in Loop: Header=BB0_2 Depth=1
	v_mov_b32_e32 v5, v7
	v_mov_b32_e32 v6, v8
	s_branch .LBB0_2
.LBB0_8:
	v_mov_b32_e32 v8, v6
	v_mov_b32_e32 v7, v5
.LBB0_9:
	s_lshl_b64 s[0:1], s[10:11], 3
	s_add_u32 s0, s14, s0
	s_addc_u32 s1, s15, s1
	s_load_dwordx2 s[6:7], s[0:1], 0x0
	s_load_dwordx2 s[10:11], s[4:5], 0x20
                                        ; implicit-def: $vgpr14
                                        ; implicit-def: $vgpr12
                                        ; implicit-def: $vgpr13
                                        ; implicit-def: $vgpr15
	s_waitcnt lgkmcnt(0)
	v_mad_u64_u32 v[1:2], s[0:1], s6, v7, v[1:2]
	s_mov_b32 s0, 0x4a7904b
	v_mul_lo_u32 v3, s6, v8
	v_mul_lo_u32 v4, s7, v7
	v_mul_hi_u32 v5, v0, s0
	v_cmp_gt_u64_e32 vcc, s[10:11], v[7:8]
	v_cmp_le_u64_e64 s[0:1], s[10:11], v[7:8]
	v_add3_u32 v2, v4, v2, v3
	v_mul_u32_u24_e32 v3, 55, v5
	v_sub_u32_e32 v10, v0, v3
	v_add_u32_e32 v11, 55, v10
                                        ; implicit-def: $sgpr6
	s_and_saveexec_b64 s[4:5], s[0:1]
	s_xor_b64 s[0:1], exec, s[4:5]
; %bb.10:
	v_add_u32_e32 v14, 55, v10
	v_add_u32_e32 v12, 0x6e, v10
	;; [unrolled: 1-line block ×4, first 2 shown]
	s_mov_b32 s6, 0
; %bb.11:
	s_or_saveexec_b64 s[4:5], s[0:1]
	v_lshlrev_b64 v[4:5], 2, v[1:2]
	v_mov_b32_e32 v3, s6
	v_mov_b32_e32 v1, s6
	;; [unrolled: 1-line block ×20, first 2 shown]
                                        ; implicit-def: $vgpr78
                                        ; implicit-def: $vgpr79
                                        ; implicit-def: $vgpr18
                                        ; implicit-def: $vgpr80
                                        ; implicit-def: $vgpr66
                                        ; implicit-def: $vgpr81
                                        ; implicit-def: $vgpr74
                                        ; implicit-def: $vgpr23
                                        ; implicit-def: $vgpr82
                                        ; implicit-def: $vgpr2
                                        ; implicit-def: $vgpr60
                                        ; implicit-def: $vgpr64
                                        ; implicit-def: $vgpr70
                                        ; implicit-def: $vgpr72
                                        ; implicit-def: $vgpr75
                                        ; implicit-def: $vgpr76
                                        ; implicit-def: $vgpr85
                                        ; implicit-def: $vgpr86
                                        ; implicit-def: $vgpr88
                                        ; implicit-def: $vgpr89
	s_xor_b64 exec, exec, s[4:5]
	s_cbranch_execz .LBB0_13
; %bb.12:
	v_mad_u64_u32 v[0:1], s[0:1], s2, v10, 0
	v_add_u32_e32 v8, 0x113, v10
	v_mov_b32_e32 v7, s13
	v_mad_u64_u32 v[1:2], s[0:1], s3, v10, v[1:2]
	v_mad_u64_u32 v[2:3], s[0:1], s2, v8, 0
	v_add_co_u32_e64 v6, s[0:1], s12, v4
	v_addc_co_u32_e64 v7, s[0:1], v7, v5, s[0:1]
	v_mad_u64_u32 v[8:9], s[0:1], s3, v8, v[3:4]
	v_add_u32_e32 v9, 0x226, v10
	v_mad_u64_u32 v[12:13], s[0:1], s2, v9, 0
	v_lshlrev_b64 v[0:1], 2, v[0:1]
	v_mov_b32_e32 v3, v8
	v_add_co_u32_e64 v17, s[0:1], v6, v0
	v_addc_co_u32_e64 v18, s[0:1], v7, v1, s[0:1]
	v_lshlrev_b64 v[0:1], 2, v[2:3]
	v_mov_b32_e32 v2, v13
	v_mad_u64_u32 v[2:3], s[0:1], s3, v9, v[2:3]
	v_add_u32_e32 v3, 0x339, v10
	v_mad_u64_u32 v[8:9], s[0:1], s2, v3, 0
	v_add_co_u32_e64 v19, s[0:1], v6, v0
	v_mov_b32_e32 v13, v2
	v_mov_b32_e32 v2, v9
	v_addc_co_u32_e64 v20, s[0:1], v7, v1, s[0:1]
	v_mad_u64_u32 v[2:3], s[0:1], s3, v3, v[2:3]
	v_add_u32_e32 v3, 0x44c, v10
	v_lshlrev_b64 v[0:1], 2, v[12:13]
	v_mad_u64_u32 v[12:13], s[0:1], s2, v3, 0
	v_add_co_u32_e64 v21, s[0:1], v6, v0
	v_mov_b32_e32 v9, v2
	v_mov_b32_e32 v2, v13
	v_addc_co_u32_e64 v22, s[0:1], v7, v1, s[0:1]
	v_mad_u64_u32 v[2:3], s[0:1], s3, v3, v[2:3]
	v_add_u32_e32 v3, 0x55f, v10
	v_lshlrev_b64 v[0:1], 2, v[8:9]
	;; [unrolled: 8-line block ×3, first 2 shown]
	v_mad_u64_u32 v[12:13], s[0:1], s2, v3, 0
	v_add_co_u32_e64 v25, s[0:1], v6, v0
	v_mov_b32_e32 v9, v2
	v_mov_b32_e32 v2, v13
	v_addc_co_u32_e64 v26, s[0:1], v7, v1, s[0:1]
	v_lshlrev_b64 v[0:1], 2, v[8:9]
	v_mad_u64_u32 v[2:3], s[0:1], s3, v3, v[2:3]
	v_mad_u64_u32 v[8:9], s[0:1], s2, v11, 0
	v_add_co_u32_e64 v27, s[0:1], v6, v0
	v_mov_b32_e32 v13, v2
	v_mov_b32_e32 v2, v9
	v_addc_co_u32_e64 v28, s[0:1], v7, v1, s[0:1]
	v_mad_u64_u32 v[2:3], s[0:1], s3, v11, v[2:3]
	v_lshlrev_b64 v[0:1], 2, v[12:13]
	v_add_u32_e32 v35, 0x25d, v10
	v_add_co_u32_e64 v12, s[0:1], v6, v0
	v_mov_b32_e32 v9, v2
	v_add_u32_e32 v2, 0x14a, v10
	v_addc_co_u32_e64 v13, s[0:1], v7, v1, s[0:1]
	v_mad_u64_u32 v[29:30], s[0:1], s2, v2, 0
	v_lshlrev_b64 v[0:1], 2, v[8:9]
	v_add_co_u32_e64 v31, s[0:1], v6, v0
	v_mov_b32_e32 v0, v30
	v_addc_co_u32_e64 v32, s[0:1], v7, v1, s[0:1]
	v_mad_u64_u32 v[15:16], s[0:1], s3, v2, v[0:1]
	global_load_dword v1, v[17:18], off
	global_load_dword v3, v[19:20], off
	;; [unrolled: 1-line block ×8, first 2 shown]
	v_mad_u64_u32 v[33:34], s[0:1], s2, v35, 0
	v_mov_b32_e32 v30, v15
	v_add_u32_e32 v20, 0x370, v10
	v_mov_b32_e32 v15, v34
	v_lshlrev_b64 v[12:13], 2, v[29:30]
	v_add_u32_e32 v22, 0x596, v10
	s_waitcnt vmcnt(2)
	v_mad_u64_u32 v[17:18], s[0:1], s3, v35, v[15:16]
	v_mad_u64_u32 v[18:19], s[0:1], s2, v20, 0
	v_add_co_u32_e64 v23, s[0:1], v6, v12
	v_mov_b32_e32 v15, v19
	v_addc_co_u32_e64 v24, s[0:1], v7, v13, s[0:1]
	v_mov_b32_e32 v34, v17
	v_mad_u64_u32 v[19:20], s[0:1], s3, v20, v[15:16]
	v_add_u32_e32 v17, 0x483, v10
	v_mad_u64_u32 v[20:21], s[0:1], s2, v17, 0
	v_lshlrev_b64 v[12:13], 2, v[33:34]
	v_lshrrev_b32_e32 v78, 16, v16
	v_add_co_u32_e64 v25, s[0:1], v6, v12
	v_mov_b32_e32 v15, v21
	v_addc_co_u32_e64 v26, s[0:1], v7, v13, s[0:1]
	v_lshlrev_b64 v[12:13], 2, v[18:19]
	v_mad_u64_u32 v[17:18], s[0:1], s3, v17, v[15:16]
	v_mad_u64_u32 v[18:19], s[0:1], s2, v22, 0
	v_add_co_u32_e64 v27, s[0:1], v6, v12
	v_mov_b32_e32 v21, v17
	v_mov_b32_e32 v15, v19
	v_addc_co_u32_e64 v28, s[0:1], v7, v13, s[0:1]
	v_lshlrev_b64 v[12:13], 2, v[20:21]
	v_mad_u64_u32 v[19:20], s[0:1], s3, v22, v[15:16]
	v_add_u32_e32 v15, 0x6a9, v10
	v_mad_u64_u32 v[20:21], s[0:1], s2, v15, 0
	v_add_co_u32_e64 v29, s[0:1], v6, v12
	v_mov_b32_e32 v12, v21
	v_addc_co_u32_e64 v30, s[0:1], v7, v13, s[0:1]
	v_mad_u64_u32 v[21:22], s[0:1], s3, v15, v[12:13]
	v_add_u32_e32 v12, 0x6e, v10
	v_mad_u64_u32 v[31:32], s[0:1], s2, v12, 0
	v_lshlrev_b64 v[17:18], 2, v[18:19]
	v_add_u32_e32 v15, 0x181, v10
	v_add_co_u32_e64 v33, s[0:1], v6, v17
	v_mov_b32_e32 v13, v32
	v_addc_co_u32_e64 v34, s[0:1], v7, v18, s[0:1]
	v_lshlrev_b64 v[17:18], 2, v[20:21]
	v_mad_u64_u32 v[19:20], s[0:1], s3, v12, v[13:14]
	v_mad_u64_u32 v[20:21], s[0:1], s2, v15, 0
	v_add_co_u32_e64 v35, s[0:1], v6, v17
	v_mov_b32_e32 v32, v19
	v_addc_co_u32_e64 v36, s[0:1], v7, v18, s[0:1]
	v_lshlrev_b64 v[17:18], 2, v[31:32]
	v_mov_b32_e32 v13, v21
	v_mad_u64_u32 v[21:22], s[0:1], s3, v15, v[13:14]
	v_add_co_u32_e64 v31, s[0:1], v6, v17
	v_add_u32_e32 v15, 0x294, v10
	v_addc_co_u32_e64 v32, s[0:1], v7, v18, s[0:1]
	v_mad_u64_u32 v[37:38], s[0:1], s2, v15, 0
	v_lshlrev_b64 v[17:18], 2, v[20:21]
	v_add_co_u32_e64 v39, s[0:1], v6, v17
	v_mov_b32_e32 v13, v38
	v_addc_co_u32_e64 v40, s[0:1], v7, v18, s[0:1]
	v_mad_u64_u32 v[41:42], s[0:1], s3, v15, v[13:14]
	v_add_u32_e32 v15, 0x3a7, v10
	v_mad_u64_u32 v[42:43], s[0:1], s2, v15, 0
	global_load_dword v19, v[23:24], off
	global_load_dword v22, v[25:26], off
	global_load_dword v59, v[27:28], off
	global_load_dword v21, v[29:30], off
	global_load_dword v61, v[33:34], off
	global_load_dword v18, v[35:36], off
	global_load_dword v17, v[31:32], off
	global_load_dword v20, v[39:40], off
	v_mov_b32_e32 v38, v41
	v_mov_b32_e32 v13, v43
	v_mad_u64_u32 v[25:26], s[0:1], s3, v15, v[13:14]
	v_add_u32_e32 v15, 0x4ba, v10
	v_mad_u64_u32 v[26:27], s[0:1], s2, v15, 0
	v_lshlrev_b64 v[23:24], 2, v[37:38]
	v_mov_b32_e32 v43, v25
	v_add_co_u32_e64 v28, s[0:1], v6, v23
	v_mov_b32_e32 v13, v27
	v_addc_co_u32_e64 v29, s[0:1], v7, v24, s[0:1]
	v_mad_u64_u32 v[30:31], s[0:1], s3, v15, v[13:14]
	v_add_u32_e32 v15, 0x5cd, v10
	v_mad_u64_u32 v[31:32], s[0:1], s2, v15, 0
	v_lshlrev_b64 v[23:24], 2, v[42:43]
	v_mov_b32_e32 v27, v30
	v_add_co_u32_e64 v33, s[0:1], v6, v23
	v_mov_b32_e32 v13, v32
	v_addc_co_u32_e64 v34, s[0:1], v7, v24, s[0:1]
	v_lshlrev_b64 v[23:24], 2, v[26:27]
	v_mad_u64_u32 v[25:26], s[0:1], s3, v15, v[13:14]
	v_add_u32_e32 v15, 0x6e0, v10
	v_mad_u64_u32 v[26:27], s[0:1], s2, v15, 0
	v_add_co_u32_e64 v35, s[0:1], v6, v23
	v_mov_b32_e32 v32, v25
	v_mov_b32_e32 v13, v27
	v_addc_co_u32_e64 v36, s[0:1], v7, v24, s[0:1]
	v_lshlrev_b64 v[23:24], 2, v[31:32]
	v_mad_u64_u32 v[30:31], s[0:1], s3, v15, v[13:14]
	v_add_co_u32_e64 v31, s[0:1], v6, v23
	v_add_u32_e32 v13, 0xa5, v10
	v_addc_co_u32_e64 v32, s[0:1], v7, v24, s[0:1]
	v_mad_u64_u32 v[37:38], s[0:1], s2, v13, 0
	v_mov_b32_e32 v27, v30
	v_lshlrev_b64 v[23:24], 2, v[26:27]
	v_mov_b32_e32 v15, v38
	v_add_co_u32_e64 v39, s[0:1], v6, v23
	v_addc_co_u32_e64 v40, s[0:1], v7, v24, s[0:1]
	v_mad_u64_u32 v[25:26], s[0:1], s3, v13, v[15:16]
	global_load_dword v26, v[28:29], off
	global_load_dword v62, v[33:34], off
	;; [unrolled: 1-line block ×5, first 2 shown]
	v_add_u32_e32 v39, 0x2cb, v10
	v_mov_b32_e32 v38, v25
	v_lshlrev_b64 v[27:28], 2, v[37:38]
	v_add_u32_e32 v25, 0x1b8, v10
	v_mad_u64_u32 v[29:30], s[0:1], s2, v25, 0
	v_add_co_u32_e64 v31, s[0:1], v6, v27
	v_add_u32_e32 v37, 0x3de, v10
	v_addc_co_u32_e64 v32, s[0:1], v7, v28, s[0:1]
	v_mad_u64_u32 v[35:36], s[0:1], s2, v37, 0
	v_mov_b32_e32 v15, v30
	v_mad_u64_u32 v[27:28], s[0:1], s3, v25, v[15:16]
	v_mov_b32_e32 v25, v36
	;; [unrolled: 2-line block ×3, first 2 shown]
	v_add_u32_e32 v27, 0x1ef, v10
	v_mov_b32_e32 v15, v34
	v_mad_u64_u32 v[39:40], s[0:1], s3, v39, v[15:16]
	v_lshlrev_b64 v[28:29], 2, v[29:30]
	v_add_u32_e32 v30, 0x63b, v10
	s_waitcnt vmcnt(8)
	v_lshrrev_b32_e32 v79, 16, v61
	s_waitcnt vmcnt(4)
	v_mad_u64_u32 v[36:37], s[0:1], s3, v37, v[25:26]
	v_add_u32_e32 v25, 0x4f1, v10
	v_mad_u64_u32 v[37:38], s[0:1], s2, v25, 0
	v_lshlrev_b64 v[34:35], 2, v[35:36]
	s_waitcnt vmcnt(1)
	v_lshrrev_b32_e32 v82, 16, v63
	v_mov_b32_e32 v15, v38
	v_mad_u64_u32 v[40:41], s[0:1], s3, v25, v[15:16]
	v_add_u32_e32 v25, 0x604, v10
	v_mad_u64_u32 v[41:42], s[0:1], s2, v25, 0
	v_add_co_u32_e64 v34, s[0:1], v6, v34
	v_mov_b32_e32 v15, v42
	v_addc_co_u32_e64 v35, s[0:1], v7, v35, s[0:1]
	v_mad_u64_u32 v[42:43], s[0:1], s3, v25, v[15:16]
	v_add_u32_e32 v25, 0x717, v10
	v_mad_u64_u32 v[43:44], s[0:1], s2, v25, 0
	v_mov_b32_e32 v38, v40
	v_lshlrev_b64 v[36:37], 2, v[37:38]
	v_mov_b32_e32 v15, v44
	v_add_co_u32_e64 v36, s[0:1], v6, v36
	v_addc_co_u32_e64 v37, s[0:1], v7, v37, s[0:1]
	v_mad_u64_u32 v[44:45], s[0:1], s3, v25, v[15:16]
	v_add_u32_e32 v15, 0xdc, v10
	v_mad_u64_u32 v[45:46], s[0:1], s2, v15, 0
	v_lshlrev_b64 v[40:41], 2, v[41:42]
	v_lshlrev_b64 v[42:43], 2, v[43:44]
	v_add_co_u32_e64 v40, s[0:1], v6, v40
	v_mov_b32_e32 v25, v46
	v_addc_co_u32_e64 v41, s[0:1], v7, v41, s[0:1]
	v_mad_u64_u32 v[46:47], s[0:1], s3, v15, v[25:26]
	v_mad_u64_u32 v[47:48], s[0:1], s2, v27, 0
	v_add_co_u32_e64 v42, s[0:1], v6, v42
	v_mov_b32_e32 v25, v48
	v_addc_co_u32_e64 v43, s[0:1], v7, v43, s[0:1]
	v_mad_u64_u32 v[48:49], s[0:1], s3, v27, v[25:26]
	v_add_u32_e32 v27, 0x302, v10
	v_mad_u64_u32 v[49:50], s[0:1], s2, v27, 0
	v_lshlrev_b64 v[44:45], 2, v[45:46]
	v_add_co_u32_e64 v51, s[0:1], v6, v44
	v_mov_b32_e32 v25, v50
	v_addc_co_u32_e64 v52, s[0:1], v7, v45, s[0:1]
	v_lshlrev_b64 v[44:45], 2, v[47:48]
	v_mad_u64_u32 v[46:47], s[0:1], s3, v27, v[25:26]
	v_add_u32_e32 v27, 0x415, v10
	v_mad_u64_u32 v[47:48], s[0:1], s2, v27, 0
	v_add_co_u32_e64 v53, s[0:1], v6, v44
	v_mov_b32_e32 v50, v46
	v_mov_b32_e32 v25, v48
	v_addc_co_u32_e64 v54, s[0:1], v7, v45, s[0:1]
	v_lshlrev_b64 v[44:45], 2, v[49:50]
	v_mad_u64_u32 v[48:49], s[0:1], s3, v27, v[25:26]
	v_add_co_u32_e64 v49, s[0:1], v6, v44
	v_addc_co_u32_e64 v50, s[0:1], v7, v45, s[0:1]
	v_lshlrev_b64 v[44:45], 2, v[47:48]
	v_add_u32_e32 v27, 0x528, v10
	v_mad_u64_u32 v[46:47], s[0:1], s2, v27, 0
	v_add_co_u32_e64 v55, s[0:1], v6, v44
	v_addc_co_u32_e64 v56, s[0:1], v7, v45, s[0:1]
	v_mad_u64_u32 v[57:58], s[0:1], s2, v30, 0
	v_mov_b32_e32 v25, v47
	v_mad_u64_u32 v[44:45], s[0:1], s3, v27, v[25:26]
	v_mov_b32_e32 v25, v58
	global_load_dword v48, v[34:35], off
	global_load_dword v27, v[36:37], off
	;; [unrolled: 1-line block ×8, first 2 shown]
	v_mad_u64_u32 v[36:37], s[0:1], s3, v30, v[25:26]
	v_add_u32_e32 v30, 0x74e, v10
	v_mad_u64_u32 v[37:38], s[0:1], s2, v30, 0
	v_mov_b32_e32 v47, v44
	v_lshlrev_b64 v[34:35], 2, v[46:47]
	v_mov_b32_e32 v25, v38
	v_add_co_u32_e64 v34, s[0:1], v6, v34
	v_addc_co_u32_e64 v35, s[0:1], v7, v35, s[0:1]
	v_mad_u64_u32 v[42:43], s[0:1], s3, v30, v[25:26]
	v_mov_b32_e32 v58, v36
	v_lshlrev_b64 v[40:41], 2, v[57:58]
	v_mov_b32_e32 v38, v42
	v_add_co_u32_e64 v40, s[0:1], v6, v40
	v_lshlrev_b64 v[36:37], 2, v[37:38]
	v_addc_co_u32_e64 v41, s[0:1], v7, v41, s[0:1]
	v_add_co_u32_e64 v36, s[0:1], v6, v36
	v_addc_co_u32_e64 v37, s[0:1], v7, v37, s[0:1]
	global_load_dword v25, v[34:35], off
	global_load_dword v30, v[40:41], off
	;; [unrolled: 1-line block ×3, first 2 shown]
	v_mov_b32_e32 v34, v39
	v_add_co_u32_e64 v28, s[0:1], v6, v28
	v_lshlrev_b64 v[33:34], 2, v[33:34]
	v_addc_co_u32_e64 v29, s[0:1], v7, v29, s[0:1]
	v_add_co_u32_e64 v6, s[0:1], v6, v33
	v_addc_co_u32_e64 v7, s[0:1], v7, v34, s[0:1]
	global_load_dword v55, v[31:32], off
	global_load_dword v83, v[28:29], off
	;; [unrolled: 1-line block ×3, first 2 shown]
	s_mov_b32 s0, 0x5040100
	s_mov_b32 s1, 0x7060302
	v_perm_b32 v75, v63, v62, s0
	s_waitcnt vmcnt(14)
	v_perm_b32 v76, v23, v62, s1
	v_perm_b32 v85, v61, v59, s0
	;; [unrolled: 1-line block ×5, first 2 shown]
	v_mov_b32_e32 v14, v11
	s_waitcnt vmcnt(11)
	v_lshrrev_b32_e32 v80, 16, v65
	v_perm_b32 v70, v65, v48, s0
	s_waitcnt vmcnt(10)
	v_perm_b32 v72, v66, v48, s1
	s_waitcnt vmcnt(4)
	v_lshrrev_b32_e32 v81, 16, v30
	v_perm_b32 v60, v30, v64, s0
	s_waitcnt vmcnt(3)
	v_perm_b32 v64, v74, v64, s1
.LBB0_13:
	s_or_b64 exec, exec, s[4:5]
	s_mov_b32 s11, 0x5040100
	s_mov_b32 s5, 0x7060302
	v_perm_b32 v92, v8, v9, s11
	v_add_f16_e32 v6, v2, v3
	v_perm_b32 v91, v3, v9, s5
	v_pk_add_f16 v9, v88, v92
	v_add_f16_sdwa v29, v6, v9 dst_sel:DWORD dst_unused:UNUSED_PAD src0_sel:DWORD src1_sel:WORD_1
	v_sub_f16_e32 v30, v6, v9
	v_alignbit_b32 v6, v6, v9, 16
	v_sub_f16_sdwa v7, v8, v78 dst_sel:DWORD dst_unused:UNUSED_PAD src0_sel:WORD_1 src1_sel:DWORD
	v_pk_add_f16 v28, v91, v89 neg_lo:[0,1] neg_hi:[0,1]
	v_pk_add_f16 v6, v9, v6 neg_lo:[0,1] neg_hi:[0,1]
	s_mov_b32 s0, 0x39e02b26
	v_pack_b32_f16 v35, v7, v28
	v_add_f16_e32 v9, v29, v9
	v_mul_f16_e32 v29, 0xba52, v30
	v_pk_mul_f16 v36, v6, s0
	v_add_f16_e32 v34, v7, v28
	v_pk_add_f16 v35, v28, v35 neg_lo:[0,1] neg_hi:[0,1]
	v_sub_f16_sdwa v7, v7, v28 dst_sel:DWORD dst_unused:UNUSED_PAD src0_sel:DWORD src1_sel:WORD_1
	v_alignbit_b32 v29, v29, v36, 16
	s_mov_b32 s1, 0x3574b846
	v_add_f16_sdwa v28, v28, v34 dst_sel:DWORD dst_unused:UNUSED_PAD src0_sel:WORD_1 src1_sel:DWORD
	v_add_f16_e32 v34, v9, v1
	s_movk_i32 s7, 0x3a52
	v_pk_fma_f16 v6, v6, s0, v29 neg_lo:[1,0,0] neg_hi:[1,0,0]
	v_pk_mul_f16 v29, v35, s1
	v_mul_f16_e32 v7, 0x3b00, v7
	s_mov_b32 s10, 0xbcab
	s_movk_i32 s6, 0x370e
	v_fma_f16 v30, v30, s7, v36
	v_mul_f16_e32 v36, 0x370e, v28
	v_fma_f16 v9, v9, s10, v34
	v_add_f16_sdwa v29, v29, v29 dst_sel:DWORD dst_unused:UNUSED_PAD src0_sel:WORD_1 src1_sel:DWORD
	v_pk_fma_f16 v7, v35, s1, v7 op_sel_hi:[1,1,0] neg_lo:[1,0,0] neg_hi:[1,0,1]
	v_add_f16_e32 v30, v30, v9
	v_pk_add_f16 v6, v6, v9 op_sel_hi:[1,0]
	v_fma_f16 v9, v28, s6, v29
	v_pk_add_f16 v7, v7, v36 op_sel_hi:[1,0]
	v_add_f16_e32 v28, v30, v9
	v_pk_add_f16 v29, v6, v7
	v_pk_add_f16 v6, v6, v7 neg_lo:[0,1] neg_hi:[0,1]
	s_mov_b32 s4, 0xffff
	v_perm_b32 v95, v22, v21, s11
	v_add_f16_e32 v16, v18, v19
	v_mad_u32_u24 v77, v10, 14, 0
	v_sub_f16_e32 v7, v30, v9
	v_bfi_b32 v30, s4, v29, v6
	v_alignbit_b32 v29, v6, v29, 16
	v_pack_b32_f16 v28, v34, v28
	v_perm_b32 v94, v19, v21, s5
	v_pk_add_f16 v6, v85, v95
	v_sub_f16_sdwa v31, v22, v79 dst_sel:DWORD dst_unused:UNUSED_PAD src0_sel:WORD_1 src1_sel:DWORD
	ds_write_b96 v77, v[28:30]
	ds_write_b16 v77, v7 offset:12
	v_pk_add_f16 v7, v94, v86 neg_lo:[0,1] neg_hi:[0,1]
	v_add_f16_sdwa v9, v16, v6 dst_sel:DWORD dst_unused:UNUSED_PAD src0_sel:DWORD src1_sel:WORD_1
	v_sub_f16_e32 v21, v16, v6
	v_alignbit_b32 v16, v16, v6, 16
	v_pk_add_f16 v16, v6, v16 neg_lo:[0,1] neg_hi:[0,1]
	v_add_f16_e32 v28, v31, v7
	v_pack_b32_f16 v29, v31, v7
	v_pk_add_f16 v29, v7, v29 neg_lo:[0,1] neg_hi:[0,1]
	v_sub_f16_sdwa v30, v31, v7 dst_sel:DWORD dst_unused:UNUSED_PAD src0_sel:DWORD src1_sel:WORD_1
	v_add_f16_sdwa v7, v7, v28 dst_sel:DWORD dst_unused:UNUSED_PAD src0_sel:WORD_1 src1_sel:DWORD
	v_mul_f16_e32 v28, 0xba52, v21
	v_pk_mul_f16 v31, v16, s0
	v_add_f16_e32 v6, v9, v6
	v_alignbit_b32 v28, v28, v31, 16
	v_add_f16_e32 v9, v6, v0
	v_pk_fma_f16 v16, v16, s0, v28 neg_lo:[1,0,0] neg_hi:[1,0,0]
	v_pk_mul_f16 v28, v29, s1
	v_mul_f16_e32 v30, 0x3b00, v30
	v_fma_f16 v21, v21, s7, v31
	v_mul_f16_e32 v31, 0x370e, v7
	v_fma_f16 v6, v6, s10, v9
	v_add_f16_sdwa v28, v28, v28 dst_sel:DWORD dst_unused:UNUSED_PAD src0_sel:WORD_1 src1_sel:DWORD
	v_pk_fma_f16 v29, v29, s1, v30 op_sel_hi:[1,1,0] neg_lo:[1,0,0] neg_hi:[1,0,1]
	v_add_f16_e32 v21, v21, v6
	v_pk_add_f16 v6, v16, v6 op_sel_hi:[1,0]
	v_fma_f16 v7, v7, s6, v28
	v_pk_add_f16 v16, v29, v31 op_sel_hi:[1,0]
	v_add_f16_e32 v28, v21, v7
	v_pk_add_f16 v29, v6, v16
	v_pk_add_f16 v6, v6, v16 neg_lo:[0,1] neg_hi:[0,1]
	v_perm_b32 v97, v26, v24, s11
	v_add_f16_e32 v32, v23, v20
	v_mad_i32_i24 v84, v14, 14, 0
	v_bfi_b32 v30, s4, v29, v6
	v_alignbit_b32 v29, v6, v29, 16
	v_pack_b32_f16 v28, v9, v28
	v_perm_b32 v96, v20, v24, s5
	v_pk_add_f16 v6, v75, v97
	v_sub_f16_sdwa v33, v26, v82 dst_sel:DWORD dst_unused:UNUSED_PAD src0_sel:WORD_1 src1_sel:DWORD
	ds_write_b96 v84, v[28:30]
	v_pk_add_f16 v9, v96, v76 neg_lo:[0,1] neg_hi:[0,1]
	v_alignbit_b32 v28, v32, v6, 16
	v_add_f16_sdwa v16, v32, v6 dst_sel:DWORD dst_unused:UNUSED_PAD src0_sel:DWORD src1_sel:WORD_1
	v_sub_f16_e32 v24, v32, v6
	v_pk_add_f16 v28, v6, v28 neg_lo:[0,1] neg_hi:[0,1]
	v_pack_b32_f16 v30, v33, v9
	v_add_f16_e32 v29, v33, v9
	v_pk_add_f16 v31, v9, v30 neg_lo:[0,1] neg_hi:[0,1]
	v_sub_f16_sdwa v30, v33, v9 dst_sel:DWORD dst_unused:UNUSED_PAD src0_sel:DWORD src1_sel:WORD_1
	v_add_f16_e32 v6, v16, v6
	v_mul_f16_e32 v16, 0xba52, v24
	v_pk_mul_f16 v32, v28, s0
	v_add_f16_sdwa v9, v9, v29 dst_sel:DWORD dst_unused:UNUSED_PAD src0_sel:WORD_1 src1_sel:DWORD
	v_alignbit_b32 v16, v16, v32, 16
	v_mul_f16_e32 v29, 0x3b00, v30
	v_add_f16_e32 v33, v6, v17
	v_pk_fma_f16 v16, v28, s0, v16 neg_lo:[1,0,0] neg_hi:[1,0,0]
	v_mul_f16_e32 v28, 0x370e, v9
	v_pk_fma_f16 v29, v31, s1, v29 op_sel_hi:[1,1,0] neg_lo:[1,0,0] neg_hi:[1,0,1]
	v_fma_f16 v6, v6, s10, v33
	v_pk_add_f16 v28, v29, v28 op_sel_hi:[1,0]
	v_pk_add_f16 v16, v16, v6 op_sel_hi:[1,0]
	v_pk_add_f16 v29, v16, v28
	v_pk_add_f16 v16, v16, v28 neg_lo:[0,1] neg_hi:[0,1]
	v_bfi_b32 v30, s4, v29, v16
	v_alignbit_b32 v29, v16, v29, 16
	v_fma_f16 v16, v24, s7, v32
	v_add_f16_e32 v6, v16, v6
	v_pk_mul_f16 v16, v31, s1
	v_add_f16_sdwa v16, v16, v16 dst_sel:DWORD dst_unused:UNUSED_PAD src0_sel:WORD_1 src1_sel:DWORD
	v_fma_f16 v9, v9, s6, v16
	v_sub_f16_e32 v7, v21, v7
	v_add_f16_e32 v16, v6, v9
	s_waitcnt vmcnt(0)
	v_perm_b32 v99, v87, v27, s11
	ds_write_b16 v84, v7 offset:12
	v_add_f16_e32 v7, v66, v83
	v_mad_i32_i24 v90, v12, 14, 0
	v_pack_b32_f16 v28, v33, v16
	v_perm_b32 v98, v83, v27, s5
	v_pk_add_f16 v16, v70, v99
	v_sub_f16_sdwa v21, v87, v80 dst_sel:DWORD dst_unused:UNUSED_PAD src0_sel:WORD_1 src1_sel:DWORD
	ds_write_b96 v90, v[28:30]
	v_pk_add_f16 v24, v98, v72 neg_lo:[0,1] neg_hi:[0,1]
	v_add_f16_sdwa v27, v7, v16 dst_sel:DWORD dst_unused:UNUSED_PAD src0_sel:DWORD src1_sel:WORD_1
	v_sub_f16_e32 v30, v7, v16
	v_alignbit_b32 v7, v7, v16, 16
	v_pk_add_f16 v7, v16, v7 neg_lo:[0,1] neg_hi:[0,1]
	v_add_f16_e32 v16, v27, v16
	v_pack_b32_f16 v27, v21, v24
	v_add_f16_e32 v28, v21, v24
	v_pk_add_f16 v27, v24, v27 neg_lo:[0,1] neg_hi:[0,1]
	v_sub_f16_sdwa v21, v21, v24 dst_sel:DWORD dst_unused:UNUSED_PAD src0_sel:DWORD src1_sel:WORD_1
	v_add_f16_sdwa v24, v24, v28 dst_sel:DWORD dst_unused:UNUSED_PAD src0_sel:WORD_1 src1_sel:DWORD
	v_mul_f16_e32 v28, 0xba52, v30
	v_pk_mul_f16 v31, v7, s0
	v_alignbit_b32 v28, v28, v31, 16
	v_mul_f16_e32 v21, 0x3b00, v21
	v_add_f16_e32 v32, v16, v55
	v_pk_fma_f16 v7, v7, s0, v28 neg_lo:[1,0,0] neg_hi:[1,0,0]
	v_pk_fma_f16 v21, v27, s1, v21 op_sel_hi:[1,1,0] neg_lo:[1,0,0] neg_hi:[1,0,1]
	v_mul_f16_e32 v28, 0x370e, v24
	v_fma_f16 v16, v16, s10, v32
	v_pk_add_f16 v21, v21, v28 op_sel_hi:[1,0]
	v_pk_add_f16 v7, v7, v16 op_sel_hi:[1,0]
	v_pk_add_f16 v28, v7, v21
	v_pk_add_f16 v7, v7, v21 neg_lo:[0,1] neg_hi:[0,1]
	v_bfi_b32 v29, s4, v28, v7
	v_alignbit_b32 v28, v7, v28, 16
	v_fma_f16 v7, v30, s7, v31
	v_add_f16_e32 v7, v7, v16
	v_pk_mul_f16 v16, v27, s1
	v_add_f16_sdwa v16, v16, v16 dst_sel:DWORD dst_unused:UNUSED_PAD src0_sel:WORD_1 src1_sel:DWORD
	v_fma_f16 v16, v24, s6, v16
	v_add_f16_e32 v21, v7, v16
	v_sub_f16_e32 v6, v6, v9
	v_pack_b32_f16 v27, v32, v21
	ds_write_b16 v90, v6 offset:12
	v_mad_i32_i24 v93, v13, 14, 0
	v_sub_f16_e32 v6, v7, v16
	v_perm_b32 v101, v73, v25, s11
	v_add_f16_e32 v21, v74, v71
	ds_write_b96 v93, v[27:29]
	ds_write_b16 v93, v6 offset:12
	v_perm_b32 v100, v71, v25, s5
	v_pk_add_f16 v6, v60, v101
	v_sub_f16_sdwa v9, v73, v81 dst_sel:DWORD dst_unused:UNUSED_PAD src0_sel:WORD_1 src1_sel:DWORD
	v_pk_add_f16 v7, v100, v64 neg_lo:[0,1] neg_hi:[0,1]
	v_add_f16_sdwa v16, v21, v6 dst_sel:DWORD dst_unused:UNUSED_PAD src0_sel:DWORD src1_sel:WORD_1
	v_sub_f16_e32 v24, v21, v6
	v_alignbit_b32 v21, v21, v6, 16
	v_pk_add_f16 v21, v6, v21 neg_lo:[0,1] neg_hi:[0,1]
	v_add_f16_e32 v6, v16, v6
	v_pack_b32_f16 v16, v9, v7
	v_add_f16_e32 v25, v9, v7
	v_sub_f16_sdwa v9, v9, v7 dst_sel:DWORD dst_unused:UNUSED_PAD src0_sel:DWORD src1_sel:WORD_1
	v_pk_add_f16 v16, v7, v16 neg_lo:[0,1] neg_hi:[0,1]
	v_add_f16_sdwa v7, v7, v25 dst_sel:DWORD dst_unused:UNUSED_PAD src0_sel:WORD_1 src1_sel:DWORD
	v_pk_mul_f16 v25, v21, s0
	v_mul_f16_e32 v9, 0x3b00, v9
	v_fma_f16 v27, v24, s7, v25
	v_mul_f16_e32 v24, 0xba52, v24
	v_pk_fma_f16 v9, v16, s1, v9 op_sel_hi:[1,1,0] neg_lo:[1,0,0] neg_hi:[1,0,1]
	v_pk_mul_f16 v16, v16, s1
	v_alignbit_b32 v24, v24, v25, 16
	v_add_f16_e32 v25, v6, v45
	v_add_f16_sdwa v16, v16, v16 dst_sel:DWORD dst_unused:UNUSED_PAD src0_sel:WORD_1 src1_sel:DWORD
	v_pk_fma_f16 v21, v21, s0, v24 neg_lo:[1,0,0] neg_hi:[1,0,0]
	v_fma_f16 v6, v6, s10, v25
	v_fma_f16 v16, v7, s6, v16
	v_mul_f16_e32 v7, 0x370e, v7
	v_add_f16_e32 v24, v27, v6
	v_pk_add_f16 v6, v21, v6 op_sel_hi:[1,0]
	v_pk_add_f16 v7, v9, v7 op_sel_hi:[1,0]
	v_pk_add_f16 v9, v6, v7
	v_pk_add_f16 v6, v6, v7 neg_lo:[0,1] neg_hi:[0,1]
	v_add_f16_e32 v7, v24, v16
	v_pack_b32_f16 v27, v25, v7
	v_bfi_b32 v29, s4, v9, v6
	v_alignbit_b32 v28, v6, v9, 16
	v_mad_i32_i24 v7, v15, 14, 0
	v_sub_f16_e32 v24, v24, v16
	ds_write_b96 v7, v[27:29]
	ds_write_b16 v7, v24 offset:12
	v_mad_i32_i24 v16, v10, -12, v77
	v_mad_i32_i24 v9, v14, -12, v84
	;; [unrolled: 1-line block ×3, first 2 shown]
	s_waitcnt lgkmcnt(0)
	; wave barrier
	s_waitcnt lgkmcnt(0)
	ds_read_u16 v7, v7
	ds_read_u16 v21, v16
	ds_read_u16 v58, v16 offset:350
	ds_read_u16 v56, v16 offset:460
	;; [unrolled: 1-line block ×23, first 2 shown]
	ds_read_u16 v9, v9
	ds_read_u16 v25, v16 offset:3720
	ds_read_u16 v46, v16 offset:3610
	;; [unrolled: 1-line block ×7, first 2 shown]
	s_movk_i32 s11, 0x3b00
	v_cmp_gt_u32_e64 s[0:1], 10, v10
	v_lshrrev_b32_e32 v6, 16, v6
	v_mul_i32_i24_e32 v104, 14, v15
	v_mul_i32_i24_e32 v103, -12, v14
	v_mul_i32_i24_e32 v102, -12, v12
                                        ; implicit-def: $vgpr36
                                        ; implicit-def: $vgpr38
                                        ; implicit-def: $vgpr28
                                        ; implicit-def: $vgpr29
                                        ; implicit-def: $vgpr42
                                        ; implicit-def: $vgpr40
                                        ; implicit-def: $vgpr35
                                        ; implicit-def: $vgpr30
                                        ; implicit-def: $vgpr33
	s_and_saveexec_b64 s[4:5], s[0:1]
	s_cbranch_execz .LBB0_15
; %bb.14:
	v_mad_i32_i24 v6, v13, -12, v93
	ds_read_u16 v24, v16 offset:680
	ds_read_u16 v36, v16 offset:1030
	;; [unrolled: 1-line block ×9, first 2 shown]
	ds_read_u16 v6, v6
	ds_read_u16 v42, v16 offset:3830
.LBB0_15:
	s_or_b64 exec, exec, s[4:5]
	v_sub_f16_e32 v2, v3, v2
	v_add_f16_sdwa v3, v78, v8 dst_sel:DWORD dst_unused:UNUSED_PAD src0_sel:DWORD src1_sel:WORD_1
	v_sub_f16_e32 v8, v19, v18
	v_sub_f16_e32 v19, v20, v23
	v_add_f16_sdwa v20, v82, v26 dst_sel:DWORD dst_unused:UNUSED_PAD src0_sel:DWORD src1_sel:WORD_1
	v_sub_f16_e32 v26, v71, v74
	v_pk_add_f16 v71, v89, v91
	v_add_f16_sdwa v18, v79, v22 dst_sel:DWORD dst_unused:UNUSED_PAD src0_sel:DWORD src1_sel:WORD_1
	v_sub_f16_e32 v22, v83, v66
	v_add_f16_sdwa v66, v81, v73 dst_sel:DWORD dst_unused:UNUSED_PAD src0_sel:DWORD src1_sel:WORD_1
	v_pk_add_f16 v73, v92, v88 neg_lo:[0,1] neg_hi:[0,1]
	v_add_f16_sdwa v74, v71, v3 dst_sel:DWORD dst_unused:UNUSED_PAD src0_sel:WORD_1 src1_sel:DWORD
	v_add_f16_sdwa v23, v80, v87 dst_sel:DWORD dst_unused:UNUSED_PAD src0_sel:DWORD src1_sel:WORD_1
	v_sub_f16_sdwa v78, v3, v71 dst_sel:DWORD dst_unused:UNUSED_PAD src0_sel:DWORD src1_sel:WORD_1
	v_sub_f16_sdwa v79, v71, v71 dst_sel:DWORD dst_unused:UNUSED_PAD src0_sel:WORD_1 src1_sel:DWORD
	v_sub_f16_e32 v3, v71, v3
	v_add_f16_sdwa v80, v73, v73 dst_sel:DWORD dst_unused:UNUSED_PAD src0_sel:WORD_1 src1_sel:DWORD
	v_sub_f16_sdwa v81, v73, v73 dst_sel:DWORD dst_unused:UNUSED_PAD src0_sel:DWORD src1_sel:WORD_1
	v_add_f16_e32 v71, v74, v71
	v_sub_f16_e32 v82, v2, v73
	v_sub_f16_sdwa v73, v73, v2 dst_sel:DWORD dst_unused:UNUSED_PAD src0_sel:WORD_1 src1_sel:DWORD
	v_add_f16_e32 v2, v2, v80
	v_add_f16_sdwa v1, v71, v1 dst_sel:DWORD dst_unused:UNUSED_PAD src0_sel:DWORD src1_sel:WORD_1
	v_mul_f16_e32 v3, 0x2b26, v3
	v_mul_f16_e32 v80, 0xb846, v81
	s_movk_i32 s4, 0x39e0
	v_mul_f16_e32 v74, 0x3a52, v79
	v_mul_f16_e32 v81, 0x3b00, v73
	v_fma_f16 v71, v71, s10, v1
	v_fma_f16 v79, v79, s7, v3
	v_fma_f16 v3, v78, s4, -v3
	s_mov_b32 s5, 0xb9e0
	s_movk_i32 s14, 0x3574
	v_fma_f16 v73, v73, s11, -v80
	s_mov_b32 s15, 0xb574
	v_fma_f16 v74, v78, s5, -v74
	v_fma_f16 v78, v82, s14, v80
	v_fma_f16 v80, v82, s15, -v81
	v_add_f16_e32 v3, v3, v71
	v_fma_f16 v73, v2, s6, v73
	v_add_f16_e32 v79, v79, v71
	v_add_f16_e32 v71, v74, v71
	v_fma_f16 v74, v2, s6, v78
	v_fma_f16 v2, v2, s6, v80
	v_add_f16_e32 v81, v73, v3
	v_sub_f16_e32 v3, v3, v73
	v_pk_add_f16 v73, v86, v94
	v_sub_f16_e32 v78, v79, v74
	v_sub_f16_e32 v80, v71, v2
	v_add_f16_e32 v2, v2, v71
	v_add_f16_e32 v71, v74, v79
	v_pk_add_f16 v74, v95, v85 neg_lo:[0,1] neg_hi:[0,1]
	v_add_f16_sdwa v79, v73, v18 dst_sel:DWORD dst_unused:UNUSED_PAD src0_sel:WORD_1 src1_sel:DWORD
	v_sub_f16_sdwa v82, v18, v73 dst_sel:DWORD dst_unused:UNUSED_PAD src0_sel:DWORD src1_sel:WORD_1
	v_sub_f16_sdwa v83, v73, v73 dst_sel:DWORD dst_unused:UNUSED_PAD src0_sel:WORD_1 src1_sel:DWORD
	v_sub_f16_e32 v18, v73, v18
	v_add_f16_sdwa v85, v74, v74 dst_sel:DWORD dst_unused:UNUSED_PAD src0_sel:WORD_1 src1_sel:DWORD
	v_sub_f16_sdwa v86, v74, v74 dst_sel:DWORD dst_unused:UNUSED_PAD src0_sel:DWORD src1_sel:WORD_1
	v_sub_f16_e32 v87, v8, v74
	v_sub_f16_sdwa v74, v74, v8 dst_sel:DWORD dst_unused:UNUSED_PAD src0_sel:WORD_1 src1_sel:DWORD
	v_add_f16_e32 v73, v79, v73
	v_add_f16_e32 v8, v8, v85
	v_add_f16_sdwa v79, v73, v0 dst_sel:DWORD dst_unused:UNUSED_PAD src0_sel:DWORD src1_sel:WORD_1
	v_mul_f16_e32 v0, 0x3a52, v83
	v_mul_f16_e32 v18, 0x2b26, v18
	v_mul_f16_e32 v85, 0xb846, v86
	v_mul_f16_e32 v86, 0x3b00, v74
	v_fma_f16 v73, v73, s10, v79
	v_fma_f16 v83, v83, s7, v18
	v_fma_f16 v18, v82, s4, -v18
	v_fma_f16 v0, v82, s5, -v0
	v_fma_f16 v82, v87, s14, v85
	v_fma_f16 v74, v74, s11, -v85
	v_fma_f16 v85, v87, s15, -v86
	v_add_f16_e32 v83, v83, v73
	v_add_f16_e32 v18, v18, v73
	v_add_f16_e32 v0, v0, v73
	v_fma_f16 v73, v8, s6, v82
	v_fma_f16 v74, v8, s6, v74
	v_fma_f16 v8, v8, s6, v85
	v_sub_f16_e32 v85, v0, v8
	v_add_f16_e32 v8, v8, v0
	v_pk_add_f16 v0, v76, v96
	v_add_f16_e32 v86, v74, v18
	v_sub_f16_e32 v18, v18, v74
	v_pk_add_f16 v74, v97, v75 neg_lo:[0,1] neg_hi:[0,1]
	v_add_f16_sdwa v75, v0, v20 dst_sel:DWORD dst_unused:UNUSED_PAD src0_sel:WORD_1 src1_sel:DWORD
	v_sub_f16_e32 v82, v83, v73
	v_add_f16_e32 v73, v73, v83
	v_sub_f16_sdwa v76, v20, v0 dst_sel:DWORD dst_unused:UNUSED_PAD src0_sel:DWORD src1_sel:WORD_1
	v_sub_f16_sdwa v83, v0, v0 dst_sel:DWORD dst_unused:UNUSED_PAD src0_sel:WORD_1 src1_sel:DWORD
	v_sub_f16_e32 v20, v0, v20
	v_add_f16_sdwa v87, v74, v74 dst_sel:DWORD dst_unused:UNUSED_PAD src0_sel:WORD_1 src1_sel:DWORD
	v_sub_f16_sdwa v88, v74, v74 dst_sel:DWORD dst_unused:UNUSED_PAD src0_sel:DWORD src1_sel:WORD_1
	v_sub_f16_e32 v89, v19, v74
	v_sub_f16_sdwa v74, v74, v19 dst_sel:DWORD dst_unused:UNUSED_PAD src0_sel:WORD_1 src1_sel:DWORD
	v_add_f16_e32 v0, v75, v0
	v_add_f16_e32 v19, v19, v87
	v_add_f16_sdwa v17, v0, v17 dst_sel:DWORD dst_unused:UNUSED_PAD src0_sel:DWORD src1_sel:WORD_1
	v_mul_f16_e32 v75, 0x3a52, v83
	v_mul_f16_e32 v20, 0x2b26, v20
	v_mul_f16_e32 v87, 0xb846, v88
	v_mul_f16_e32 v88, 0x3b00, v74
	v_fma_f16 v0, v0, s10, v17
	v_fma_f16 v83, v83, s7, v20
	v_fma_f16 v20, v76, s4, -v20
	v_fma_f16 v75, v76, s5, -v75
	v_fma_f16 v76, v89, s14, v87
	v_fma_f16 v74, v74, s11, -v87
	v_fma_f16 v87, v89, s15, -v88
	v_add_f16_e32 v83, v83, v0
	v_add_f16_e32 v20, v20, v0
	v_add_f16_e32 v0, v75, v0
	v_fma_f16 v75, v19, s6, v76
	v_fma_f16 v74, v19, s6, v74
	v_fma_f16 v19, v19, s6, v87
	v_sub_f16_e32 v87, v0, v19
	v_add_f16_e32 v19, v19, v0
	v_pk_add_f16 v0, v72, v98
	v_add_f16_e32 v88, v74, v20
	v_sub_f16_e32 v74, v20, v74
	v_pk_add_f16 v20, v99, v70 neg_lo:[0,1] neg_hi:[0,1]
	v_add_f16_sdwa v70, v0, v23 dst_sel:DWORD dst_unused:UNUSED_PAD src0_sel:WORD_1 src1_sel:DWORD
	v_sub_f16_e32 v76, v83, v75
	v_add_f16_e32 v75, v75, v83
	;; [unrolled: 36-line block ×3, first 2 shown]
	v_sub_f16_sdwa v64, v66, v0 dst_sel:DWORD dst_unused:UNUSED_PAD src0_sel:DWORD src1_sel:WORD_1
	v_sub_f16_sdwa v83, v0, v0 dst_sel:DWORD dst_unused:UNUSED_PAD src0_sel:WORD_1 src1_sel:DWORD
	v_sub_f16_e32 v66, v0, v66
	v_add_f16_sdwa v92, v20, v20 dst_sel:DWORD dst_unused:UNUSED_PAD src0_sel:WORD_1 src1_sel:DWORD
	v_sub_f16_sdwa v94, v20, v20 dst_sel:DWORD dst_unused:UNUSED_PAD src0_sel:DWORD src1_sel:WORD_1
	v_sub_f16_e32 v95, v26, v20
	v_sub_f16_sdwa v20, v20, v26 dst_sel:DWORD dst_unused:UNUSED_PAD src0_sel:WORD_1 src1_sel:DWORD
	v_add_f16_e32 v0, v60, v0
	v_add_f16_e32 v26, v26, v92
	v_add_f16_sdwa v45, v0, v45 dst_sel:DWORD dst_unused:UNUSED_PAD src0_sel:DWORD src1_sel:WORD_1
	v_mul_f16_e32 v60, 0x3a52, v83
	v_mul_f16_e32 v66, 0x2b26, v66
	;; [unrolled: 1-line block ×4, first 2 shown]
	v_pack_b32_f16 v3, v3, v2
	v_pack_b32_f16 v2, v80, v81
	;; [unrolled: 1-line block ×3, first 2 shown]
	v_fma_f16 v0, v0, s10, v45
	v_fma_f16 v83, v83, s7, v66
	v_fma_f16 v66, v64, s4, -v66
	v_fma_f16 v60, v64, s5, -v60
	v_fma_f16 v64, v95, s14, v92
	v_fma_f16 v20, v20, s11, -v92
	v_fma_f16 v92, v95, s15, -v94
	s_waitcnt lgkmcnt(0)
	; wave barrier
	s_waitcnt lgkmcnt(0)
	ds_write_b96 v77, v[1:3]
	ds_write_b16 v77, v71 offset:12
	v_pack_b32_f16 v3, v18, v8
	v_pack_b32_f16 v2, v85, v86
	v_pack_b32_f16 v1, v79, v82
	v_add_f16_e32 v83, v83, v0
	v_add_f16_e32 v66, v66, v0
	;; [unrolled: 1-line block ×3, first 2 shown]
	v_fma_f16 v60, v26, s6, v64
	v_fma_f16 v20, v26, s6, v20
	;; [unrolled: 1-line block ×3, first 2 shown]
	ds_write_b96 v84, v[1:3]
	ds_write_b16 v84, v73 offset:12
	v_pack_b32_f16 v3, v74, v19
	v_pack_b32_f16 v2, v87, v88
	;; [unrolled: 1-line block ×3, first 2 shown]
	v_sub_f16_e32 v64, v83, v60
	v_sub_f16_e32 v92, v0, v26
	v_add_f16_e32 v94, v20, v66
	v_sub_f16_e32 v66, v66, v20
	v_add_f16_e32 v0, v26, v0
	ds_write_b96 v90, v[1:3]
	ds_write_b16 v90, v75 offset:12
	v_pack_b32_f16 v3, v23, v22
	v_pack_b32_f16 v2, v89, v91
	;; [unrolled: 1-line block ×3, first 2 shown]
	ds_write_b96 v93, v[1:3]
	ds_write_b16 v93, v70 offset:12
	v_add_u32_e32 v8, 0, v104
	v_pack_b32_f16 v3, v66, v0
	v_pack_b32_f16 v2, v92, v94
	;; [unrolled: 1-line block ×3, first 2 shown]
	v_add_u32_e32 v18, v90, v102
	v_add_f16_e32 v20, v60, v83
	ds_write_b96 v8, v[1:3]
	ds_write_b16 v8, v20 offset:12
	s_waitcnt lgkmcnt(0)
	; wave barrier
	s_waitcnt lgkmcnt(0)
	v_add_u32_e32 v17, v84, v103
	ds_read_u16 v22, v16
	ds_read_u16 v77, v16 offset:350
	ds_read_u16 v75, v16 offset:460
	;; [unrolled: 1-line block ×11, first 2 shown]
	ds_read_u16 v3, v18
	ds_read_u16 v79, v16 offset:1050
	ds_read_u16 v23, v16 offset:920
	;; [unrolled: 1-line block ×14, first 2 shown]
	ds_read_u16 v8, v17
	ds_read_u16 v74, v16 offset:3720
	ds_read_u16 v96, v16 offset:3500
	;; [unrolled: 1-line block ×5, first 2 shown]
	v_lshl_add_u32 v19, v13, 1, 0
                                        ; implicit-def: $vgpr115
                                        ; implicit-def: $vgpr114
                                        ; implicit-def: $vgpr112
                                        ; implicit-def: $vgpr26
                                        ; implicit-def: $vgpr108
                                        ; implicit-def: $vgpr109
                                        ; implicit-def: $vgpr110
                                        ; implicit-def: $vgpr111
                                        ; implicit-def: $vgpr113
	s_and_saveexec_b64 s[4:5], s[0:1]
	s_cbranch_execz .LBB0_17
; %bb.16:
	ds_read_u16 v20, v16 offset:680
	ds_read_u16 v115, v16 offset:1030
	;; [unrolled: 1-line block ×9, first 2 shown]
	ds_read_u16 v0, v19
	ds_read_u16 v108, v16 offset:3830
.LBB0_17:
	s_or_b64 exec, exec, s[4:5]
	v_mov_b32_e32 v1, 37
	v_mul_lo_u16_sdwa v2, v10, v1 dst_sel:DWORD dst_unused:UNUSED_PAD src0_sel:BYTE_0 src1_sel:DWORD
	v_sub_u16_sdwa v82, v10, v2 dst_sel:DWORD dst_unused:UNUSED_PAD src0_sel:DWORD src1_sel:BYTE_1
	v_lshrrev_b16_e32 v82, 1, v82
	v_and_b32_e32 v82, 0x7f, v82
	v_add_u16_sdwa v2, v82, v2 dst_sel:DWORD dst_unused:UNUSED_PAD src0_sel:DWORD src1_sel:BYTE_1
	v_lshrrev_b16_e32 v100, 2, v2
	v_mul_lo_u16_e32 v2, 7, v100
	v_sub_u16_e32 v101, v10, v2
	v_mov_b32_e32 v82, 10
	v_mul_u32_u24_sdwa v2, v101, v82 dst_sel:DWORD dst_unused:UNUSED_PAD src0_sel:BYTE_0 src1_sel:DWORD
	v_mul_lo_u16_sdwa v84, v14, v1 dst_sel:DWORD dst_unused:UNUSED_PAD src0_sel:BYTE_0 src1_sel:DWORD
	v_lshlrev_b32_e32 v2, 2, v2
	v_sub_u16_sdwa v86, v14, v84 dst_sel:DWORD dst_unused:UNUSED_PAD src0_sel:DWORD src1_sel:BYTE_1
	global_load_dwordx4 v[120:123], v2, s[8:9]
	global_load_dwordx4 v[124:127], v2, s[8:9] offset:16
	v_lshrrev_b16_e32 v86, 1, v86
	v_and_b32_e32 v86, 0x7f, v86
	v_add_u16_sdwa v84, v86, v84 dst_sel:DWORD dst_unused:UNUSED_PAD src0_sel:DWORD src1_sel:BYTE_1
	v_lshrrev_b16_e32 v95, 2, v84
	v_mul_lo_u16_e32 v84, 7, v95
	v_sub_u16_e32 v97, v14, v84
	global_load_dwordx2 v[104:105], v2, s[8:9] offset:32
	v_mul_u32_u24_sdwa v2, v97, v82 dst_sel:DWORD dst_unused:UNUSED_PAD src0_sel:BYTE_0 src1_sel:DWORD
	v_lshlrev_b32_e32 v84, 2, v2
	global_load_dwordx4 v[128:131], v84, s[8:9]
	global_load_dwordx4 v[132:135], v84, s[8:9] offset:16
	v_mul_lo_u16_sdwa v2, v12, v1 dst_sel:DWORD dst_unused:UNUSED_PAD src0_sel:BYTE_0 src1_sel:DWORD
	v_mul_lo_u16_sdwa v1, v13, v1 dst_sel:DWORD dst_unused:UNUSED_PAD src0_sel:BYTE_0 src1_sel:DWORD
	v_sub_u16_sdwa v86, v12, v2 dst_sel:DWORD dst_unused:UNUSED_PAD src0_sel:DWORD src1_sel:BYTE_1
	v_sub_u16_sdwa v87, v13, v1 dst_sel:DWORD dst_unused:UNUSED_PAD src0_sel:DWORD src1_sel:BYTE_1
	v_lshrrev_b16_e32 v86, 1, v86
	v_lshrrev_b16_e32 v87, 1, v87
	v_and_b32_e32 v86, 0x7f, v86
	v_and_b32_e32 v87, 0x7f, v87
	v_add_u16_sdwa v2, v86, v2 dst_sel:DWORD dst_unused:UNUSED_PAD src0_sel:DWORD src1_sel:BYTE_1
	v_add_u16_sdwa v1, v87, v1 dst_sel:DWORD dst_unused:UNUSED_PAD src0_sel:DWORD src1_sel:BYTE_1
	v_lshrrev_b16_e32 v106, 2, v2
	global_load_dwordx2 v[144:145], v84, s[8:9] offset:32
	v_lshrrev_b16_e32 v1, 2, v1
	v_mul_lo_u16_e32 v2, 7, v106
	v_mul_lo_u16_e32 v86, 7, v1
	v_sub_u16_e32 v107, v12, v2
	v_sub_u16_e32 v2, v13, v86
	v_mul_u32_u24_sdwa v86, v107, v82 dst_sel:DWORD dst_unused:UNUSED_PAD src0_sel:BYTE_0 src1_sel:DWORD
	v_lshlrev_b32_e32 v98, 2, v86
	global_load_dwordx4 v[136:139], v98, s[8:9]
	global_load_dwordx4 v[140:143], v98, s[8:9] offset:16
	v_mul_u32_u24_sdwa v148, v2, v82 dst_sel:DWORD dst_unused:UNUSED_PAD src0_sel:BYTE_0 src1_sel:DWORD
	s_movk_i32 s10, 0x3abb
	s_movk_i32 s6, 0x36a6
	s_mov_b32 s7, 0xb08e
	s_mov_b32 s11, 0xb93d
	;; [unrolled: 1-line block ×3, first 2 shown]
	v_mul_u32_u24_e32 v100, 0x9a, v100
	s_waitcnt vmcnt(7) lgkmcnt(14)
	v_mul_f16_sdwa v82, v77, v120 dst_sel:DWORD dst_unused:UNUSED_PAD src0_sel:DWORD src1_sel:WORD_1
	v_mul_f16_sdwa v87, v63, v121 dst_sel:DWORD dst_unused:UNUSED_PAD src0_sel:DWORD src1_sel:WORD_1
	;; [unrolled: 1-line block ×3, first 2 shown]
	s_waitcnt lgkmcnt(11)
	v_mul_f16_sdwa v147, v83, v123 dst_sel:DWORD dst_unused:UNUSED_PAD src0_sel:DWORD src1_sel:WORD_1
	v_fma_f16 v102, v58, v120, -v82
	v_fma_f16 v93, v80, v121, v87
	v_fma_f16 v87, v79, v122, v146
	v_fma_f16 v82, v67, v123, -v147
	global_load_dwordx2 v[146:147], v98, s[8:9] offset:32
	s_waitcnt vmcnt(7)
	v_mul_f16_sdwa v152, v72, v125 dst_sel:DWORD dst_unused:UNUSED_PAD src0_sel:DWORD src1_sel:WORD_1
	v_mul_f16_sdwa v84, v58, v120 dst_sel:DWORD dst_unused:UNUSED_PAD src0_sel:DWORD src1_sel:WORD_1
	;; [unrolled: 1-line block ×6, first 2 shown]
	v_fma_f16 v80, v57, v125, -v152
	v_lshlrev_b32_e32 v57, 2, v148
	v_fma_f16 v103, v77, v120, v84
	v_fma_f16 v92, v63, v121, -v86
	v_fma_f16 v86, v59, v122, -v90
	v_fma_f16 v83, v83, v123, v149
	global_load_dwordx4 v[120:123], v57, s[8:9]
	v_mul_f16_sdwa v151, v61, v124 dst_sel:DWORD dst_unused:UNUSED_PAD src0_sel:DWORD src1_sel:WORD_1
	s_waitcnt vmcnt(6)
	v_mul_f16_sdwa v162, v75, v128 dst_sel:DWORD dst_unused:UNUSED_PAD src0_sel:DWORD src1_sel:WORD_1
	v_mul_f16_sdwa v150, v81, v124 dst_sel:DWORD dst_unused:UNUSED_PAD src0_sel:DWORD src1_sel:WORD_1
	s_waitcnt lgkmcnt(1)
	v_mul_f16_sdwa v158, v99, v104 dst_sel:DWORD dst_unused:UNUSED_PAD src0_sel:DWORD src1_sel:WORD_1
	v_mul_f16_sdwa v163, v56, v128 dst_sel:DWORD dst_unused:UNUSED_PAD src0_sel:DWORD src1_sel:WORD_1
	v_fma_f16 v79, v81, v124, v151
	v_fma_f16 v81, v72, v125, v153
	v_fma_f16 v72, v56, v128, -v162
	v_mul_f16_sdwa v56, v71, v129 dst_sel:DWORD dst_unused:UNUSED_PAD src0_sel:DWORD src1_sel:WORD_1
	v_mul_f16_sdwa v154, v85, v126 dst_sel:DWORD dst_unused:UNUSED_PAD src0_sel:DWORD src1_sel:WORD_1
	;; [unrolled: 1-line block ×6, first 2 shown]
	v_fma_f16 v98, v69, v104, -v158
	v_fma_f16 v69, v53, v129, -v56
	v_mul_f16_sdwa v53, v53, v129 dst_sel:DWORD dst_unused:UNUSED_PAD src0_sel:DWORD src1_sel:WORD_1
	v_fma_f16 v77, v61, v124, -v150
	v_fma_f16 v84, v68, v126, -v154
	v_fma_f16 v85, v85, v126, v155
	v_fma_f16 v90, v62, v127, -v156
	v_fma_f16 v91, v91, v127, v157
	global_load_dwordx4 v[124:127], v57, s[8:9] offset:16
	v_fma_f16 v75, v75, v128, v163
	v_fma_f16 v71, v71, v129, v53
	global_load_dwordx2 v[128:129], v57, s[8:9] offset:32
	v_mul_f16_sdwa v53, v94, v130 dst_sel:DWORD dst_unused:UNUSED_PAD src0_sel:DWORD src1_sel:WORD_1
	v_mul_f16_sdwa v160, v96, v105 dst_sel:DWORD dst_unused:UNUSED_PAD src0_sel:DWORD src1_sel:WORD_1
	v_fma_f16 v63, v51, v130, -v53
	v_mul_f16_sdwa v51, v51, v130 dst_sel:DWORD dst_unused:UNUSED_PAD src0_sel:DWORD src1_sel:WORD_1
	v_mul_f16_sdwa v161, v65, v105 dst_sel:DWORD dst_unused:UNUSED_PAD src0_sel:DWORD src1_sel:WORD_1
	v_fma_f16 v99, v99, v104, v159
	v_fma_f16 v104, v65, v105, -v160
	v_fma_f16 v65, v94, v130, v51
	v_mul_f16_sdwa v51, v88, v131 dst_sel:DWORD dst_unused:UNUSED_PAD src0_sel:DWORD src1_sel:WORD_1
	v_fma_f16 v56, v54, v131, -v51
	v_mul_f16_sdwa v51, v54, v131 dst_sel:DWORD dst_unused:UNUSED_PAD src0_sel:DWORD src1_sel:WORD_1
	v_fma_f16 v58, v88, v131, v51
	s_waitcnt vmcnt(7)
	v_mul_f16_sdwa v51, v60, v132 dst_sel:DWORD dst_unused:UNUSED_PAD src0_sel:DWORD src1_sel:WORD_1
	v_fma_f16 v51, v50, v132, -v51
	v_mul_f16_sdwa v50, v50, v132 dst_sel:DWORD dst_unused:UNUSED_PAD src0_sel:DWORD src1_sel:WORD_1
	v_fma_f16 v59, v60, v132, v50
	v_mul_f16_sdwa v50, v76, v133 dst_sel:DWORD dst_unused:UNUSED_PAD src0_sel:DWORD src1_sel:WORD_1
	v_fma_f16 v60, v48, v133, -v50
	v_mul_f16_sdwa v48, v48, v133 dst_sel:DWORD dst_unused:UNUSED_PAD src0_sel:DWORD src1_sel:WORD_1
	v_fma_f16 v61, v76, v133, v48
	;; [unrolled: 4-line block ×4, first 2 shown]
	s_waitcnt vmcnt(6)
	v_mul_f16_sdwa v48, v89, v144 dst_sel:DWORD dst_unused:UNUSED_PAD src0_sel:DWORD src1_sel:WORD_1
	v_fma_f16 v88, v47, v144, -v48
	v_mul_f16_sdwa v47, v47, v144 dst_sel:DWORD dst_unused:UNUSED_PAD src0_sel:DWORD src1_sel:WORD_1
	v_fma_f16 v89, v89, v144, v47
	v_mul_f16_sdwa v47, v64, v145 dst_sel:DWORD dst_unused:UNUSED_PAD src0_sel:DWORD src1_sel:WORD_1
	v_fma_f16 v94, v46, v145, -v47
	v_mul_f16_sdwa v46, v46, v145 dst_sel:DWORD dst_unused:UNUSED_PAD src0_sel:DWORD src1_sel:WORD_1
	v_fma_f16 v105, v96, v105, v161
	v_fma_f16 v96, v64, v145, v46
	s_waitcnt vmcnt(5)
	v_mul_f16_sdwa v46, v118, v136 dst_sel:DWORD dst_unused:UNUSED_PAD src0_sel:DWORD src1_sel:WORD_1
	v_fma_f16 v62, v43, v136, -v46
	v_mul_f16_sdwa v43, v43, v136 dst_sel:DWORD dst_unused:UNUSED_PAD src0_sel:DWORD src1_sel:WORD_1
	v_fma_f16 v64, v118, v136, v43
	v_mul_f16_sdwa v43, v23, v137 dst_sel:DWORD dst_unused:UNUSED_PAD src0_sel:DWORD src1_sel:WORD_1
	v_fma_f16 v54, v34, v137, -v43
	v_mul_f16_sdwa v34, v34, v137 dst_sel:DWORD dst_unused:UNUSED_PAD src0_sel:DWORD src1_sel:WORD_1
	v_fma_f16 v57, v23, v137, v34
	;; [unrolled: 4-line block ×4, first 2 shown]
	s_waitcnt vmcnt(4)
	v_mul_f16_sdwa v23, v45, v140 dst_sel:DWORD dst_unused:UNUSED_PAD src0_sel:DWORD src1_sel:WORD_1
	v_fma_f16 v23, v27, v140, -v23
	v_mul_f16_sdwa v27, v27, v140 dst_sel:DWORD dst_unused:UNUSED_PAD src0_sel:DWORD src1_sel:WORD_1
	v_fma_f16 v43, v45, v140, v27
	v_mul_f16_sdwa v27, v66, v141 dst_sel:DWORD dst_unused:UNUSED_PAD src0_sel:DWORD src1_sel:WORD_1
	v_fma_f16 v44, v39, v141, -v27
	v_mul_f16_sdwa v27, v39, v141 dst_sel:DWORD dst_unused:UNUSED_PAD src0_sel:DWORD src1_sel:WORD_1
	v_fma_f16 v45, v66, v141, v27
	;; [unrolled: 4-line block ×3, first 2 shown]
	s_waitcnt lgkmcnt(0)
	v_mul_f16_sdwa v27, v116, v143 dst_sel:DWORD dst_unused:UNUSED_PAD src0_sel:DWORD src1_sel:WORD_1
	v_fma_f16 v53, v41, v143, -v27
	v_mul_f16_sdwa v27, v41, v143 dst_sel:DWORD dst_unused:UNUSED_PAD src0_sel:DWORD src1_sel:WORD_1
	v_fma_f16 v55, v116, v143, v27
	s_waitcnt vmcnt(3)
	v_mul_f16_sdwa v27, v73, v146 dst_sel:DWORD dst_unused:UNUSED_PAD src0_sel:DWORD src1_sel:WORD_1
	v_fma_f16 v66, v32, v146, -v27
	v_mul_f16_sdwa v27, v32, v146 dst_sel:DWORD dst_unused:UNUSED_PAD src0_sel:DWORD src1_sel:WORD_1
	v_fma_f16 v67, v73, v146, v27
	v_mul_f16_sdwa v27, v74, v147 dst_sel:DWORD dst_unused:UNUSED_PAD src0_sel:DWORD src1_sel:WORD_1
	v_fma_f16 v73, v25, v147, -v27
	v_mul_f16_sdwa v25, v25, v147 dst_sel:DWORD dst_unused:UNUSED_PAD src0_sel:DWORD src1_sel:WORD_1
	v_fma_f16 v74, v74, v147, v25
	s_waitcnt vmcnt(2)
	v_mul_f16_sdwa v25, v20, v120 dst_sel:DWORD dst_unused:UNUSED_PAD src0_sel:DWORD src1_sel:WORD_1
	v_fma_f16 v37, v24, v120, -v25
	v_mul_f16_sdwa v24, v24, v120 dst_sel:DWORD dst_unused:UNUSED_PAD src0_sel:DWORD src1_sel:WORD_1
	v_fma_f16 v39, v20, v120, v24
	v_mul_f16_sdwa v20, v115, v121 dst_sel:DWORD dst_unused:UNUSED_PAD src0_sel:DWORD src1_sel:WORD_1
	v_fma_f16 v34, v36, v121, -v20
	v_mul_f16_sdwa v20, v36, v121 dst_sel:DWORD dst_unused:UNUSED_PAD src0_sel:DWORD src1_sel:WORD_1
	v_fma_f16 v36, v115, v121, v20
	;; [unrolled: 4-line block ×3, first 2 shown]
	v_mul_f16_sdwa v20, v112, v123 dst_sel:DWORD dst_unused:UNUSED_PAD src0_sel:DWORD src1_sel:WORD_1
	v_fma_f16 v27, v28, v123, -v20
	v_mul_f16_sdwa v20, v28, v123 dst_sel:DWORD dst_unused:UNUSED_PAD src0_sel:DWORD src1_sel:WORD_1
	s_waitcnt vmcnt(1)
	v_mul_f16_sdwa v24, v29, v124 dst_sel:DWORD dst_unused:UNUSED_PAD src0_sel:DWORD src1_sel:WORD_1
	v_mul_f16_sdwa v25, v113, v125 dst_sel:DWORD dst_unused:UNUSED_PAD src0_sel:DWORD src1_sel:WORD_1
	s_waitcnt vmcnt(0)
	v_mul_f16_sdwa v38, v109, v128 dst_sel:DWORD dst_unused:UNUSED_PAD src0_sel:DWORD src1_sel:WORD_1
	v_fma_f16 v28, v112, v123, v20
	v_mul_f16_sdwa v20, v26, v124 dst_sel:DWORD dst_unused:UNUSED_PAD src0_sel:DWORD src1_sel:WORD_1
	v_fma_f16 v24, v26, v124, v24
	v_fma_f16 v25, v33, v125, -v25
	v_mul_f16_sdwa v26, v33, v125 dst_sel:DWORD dst_unused:UNUSED_PAD src0_sel:DWORD src1_sel:WORD_1
	v_mul_f16_sdwa v33, v110, v127 dst_sel:DWORD dst_unused:UNUSED_PAD src0_sel:DWORD src1_sel:WORD_1
	v_fma_f16 v38, v40, v128, -v38
	v_mul_f16_sdwa v40, v40, v128 dst_sel:DWORD dst_unused:UNUSED_PAD src0_sel:DWORD src1_sel:WORD_1
	v_mul_f16_sdwa v41, v108, v129 dst_sel:DWORD dst_unused:UNUSED_PAD src0_sel:DWORD src1_sel:WORD_1
	v_fma_f16 v20, v29, v124, -v20
	v_mul_f16_sdwa v29, v111, v126 dst_sel:DWORD dst_unused:UNUSED_PAD src0_sel:DWORD src1_sel:WORD_1
	v_fma_f16 v33, v35, v127, -v33
	v_mul_f16_sdwa v35, v35, v127 dst_sel:DWORD dst_unused:UNUSED_PAD src0_sel:DWORD src1_sel:WORD_1
	v_fma_f16 v40, v109, v128, v40
	v_fma_f16 v41, v42, v129, -v41
	v_mul_f16_sdwa v42, v42, v129 dst_sel:DWORD dst_unused:UNUSED_PAD src0_sel:DWORD src1_sel:WORD_1
	v_sub_f16_e32 v109, v103, v105
	v_fma_f16 v29, v30, v126, -v29
	v_mul_f16_sdwa v30, v30, v126 dst_sel:DWORD dst_unused:UNUSED_PAD src0_sel:DWORD src1_sel:WORD_1
	v_fma_f16 v35, v110, v127, v35
	v_fma_f16 v42, v108, v129, v42
	v_add_f16_e32 v108, v102, v104
	v_mul_f16_e32 v110, 0xb853, v109
	v_mul_f16_e32 v112, 0xbb47, v109
	;; [unrolled: 1-line block ×5, first 2 shown]
	v_sub_f16_e32 v119, v93, v99
	v_fma_f16 v26, v113, v125, v26
	v_fma_f16 v30, v111, v126, v30
	v_fma_f16 v111, v108, s10, -v110
	v_fma_f16 v110, v108, s10, v110
	v_fma_f16 v113, v108, s6, -v112
	;; [unrolled: 2-line block ×5, first 2 shown]
	v_fma_f16 v108, v108, s14, v109
	v_add_f16_e32 v109, v92, v98
	v_mul_f16_e32 v120, 0xbb47, v119
	v_add_f16_e32 v110, v21, v110
	v_fma_f16 v121, v109, s6, -v120
	v_fma_f16 v120, v109, s6, v120
	v_add_f16_e32 v111, v21, v111
	v_add_f16_e32 v110, v120, v110
	v_mul_f16_e32 v120, 0xba0c, v119
	v_add_f16_e32 v112, v21, v112
	v_add_f16_e32 v111, v121, v111
	v_fma_f16 v121, v109, s11, -v120
	v_fma_f16 v120, v109, s11, v120
	v_add_f16_e32 v113, v21, v113
	v_add_f16_e32 v112, v120, v112
	v_mul_f16_e32 v120, 0x3482, v119
	v_add_f16_e32 v114, v21, v114
	;; [unrolled: 7-line block ×3, first 2 shown]
	v_add_f16_e32 v115, v121, v115
	v_fma_f16 v121, v109, s7, -v120
	v_fma_f16 v120, v109, s7, v120
	v_mul_f16_e32 v119, 0x3853, v119
	v_add_f16_e32 v118, v21, v118
	v_add_f16_e32 v108, v21, v108
	v_add_f16_e32 v116, v120, v116
	v_fma_f16 v120, v109, s10, -v119
	v_fma_f16 v109, v109, s10, v119
	v_sub_f16_e32 v119, v87, v91
	v_add_f16_e32 v117, v21, v117
	v_add_f16_e32 v118, v120, v118
	;; [unrolled: 1-line block ×4, first 2 shown]
	v_mul_f16_e32 v120, 0xbbeb, v119
	v_add_f16_e32 v117, v121, v117
	v_fma_f16 v121, v109, s7, -v120
	v_fma_f16 v120, v109, s7, v120
	v_add_f16_e32 v110, v120, v110
	v_mul_f16_e32 v120, 0x3482, v119
	v_add_f16_e32 v111, v121, v111
	v_fma_f16 v121, v109, s14, -v120
	v_fma_f16 v120, v109, s14, v120
	v_add_f16_e32 v112, v120, v112
	v_mul_f16_e32 v120, 0x3b47, v119
	v_add_f16_e32 v113, v121, v113
	v_fma_f16 v121, v109, s6, -v120
	v_fma_f16 v120, v109, s6, v120
	v_add_f16_e32 v114, v120, v114
	v_mul_f16_e32 v120, 0xb853, v119
	v_add_f16_e32 v115, v121, v115
	v_fma_f16 v121, v109, s10, -v120
	v_fma_f16 v120, v109, s10, v120
	v_mul_f16_e32 v119, 0xba0c, v119
	v_add_f16_e32 v116, v120, v116
	v_fma_f16 v120, v109, s11, -v119
	v_fma_f16 v109, v109, s11, v119
	v_sub_f16_e32 v119, v83, v85
	v_add_f16_e32 v118, v120, v118
	v_add_f16_e32 v108, v109, v108
	v_add_f16_e32 v109, v82, v84
	v_mul_f16_e32 v120, 0xba0c, v119
	v_add_f16_e32 v117, v121, v117
	v_fma_f16 v121, v109, s11, -v120
	v_fma_f16 v120, v109, s11, v120
	v_add_f16_e32 v110, v120, v110
	v_mul_f16_e32 v120, 0x3beb, v119
	v_add_f16_e32 v111, v121, v111
	v_fma_f16 v121, v109, s7, -v120
	v_fma_f16 v120, v109, s7, v120
	v_add_f16_e32 v112, v120, v112
	v_mul_f16_e32 v120, 0xb853, v119
	v_add_f16_e32 v113, v121, v113
	v_fma_f16 v121, v109, s10, -v120
	v_fma_f16 v120, v109, s10, v120
	v_add_f16_e32 v114, v120, v114
	v_mul_f16_e32 v120, 0xb482, v119
	v_add_f16_e32 v115, v121, v115
	v_fma_f16 v121, v109, s14, -v120
	v_fma_f16 v120, v109, s14, v120
	v_mul_f16_e32 v119, 0x3b47, v119
	v_add_f16_e32 v116, v120, v116
	v_fma_f16 v120, v109, s6, -v119
	v_fma_f16 v109, v109, s6, v119
	v_sub_f16_e32 v119, v79, v81
	v_add_f16_e32 v118, v120, v118
	v_add_f16_e32 v108, v109, v108
	v_add_f16_e32 v109, v77, v80
	;; [unrolled: 27-line block ×3, first 2 shown]
	v_mul_f16_e32 v120, 0xb853, v119
	v_mul_f16_e32 v122, 0xbb47, v119
	v_mul_f16_e32 v124, 0xbbeb, v119
	v_mul_f16_e32 v126, 0xba0c, v119
	v_mul_f16_e32 v119, 0xb482, v119
	v_sub_f16_e32 v129, v71, v89
	v_add_f16_e32 v117, v121, v117
	v_fma_f16 v121, v108, s10, -v120
	v_fma_f16 v120, v108, s10, v120
	v_fma_f16 v123, v108, s6, -v122
	v_fma_f16 v122, v108, s6, v122
	;; [unrolled: 2-line block ×5, first 2 shown]
	v_add_f16_e32 v119, v69, v88
	v_mul_f16_e32 v130, 0xbb47, v129
	v_fma_f16 v131, v119, s6, -v130
	v_add_f16_e32 v120, v9, v120
	v_fma_f16 v130, v119, s6, v130
	v_add_f16_e32 v121, v9, v121
	v_add_f16_e32 v120, v130, v120
	v_mul_f16_e32 v130, 0xba0c, v129
	v_add_f16_e32 v121, v131, v121
	v_fma_f16 v131, v119, s11, -v130
	v_add_f16_e32 v122, v9, v122
	v_fma_f16 v130, v119, s11, v130
	v_add_f16_e32 v123, v9, v123
	v_add_f16_e32 v122, v130, v122
	v_mul_f16_e32 v130, 0x3482, v129
	v_add_f16_e32 v123, v131, v123
	;; [unrolled: 7-line block ×3, first 2 shown]
	v_fma_f16 v131, v119, s7, -v130
	v_add_f16_e32 v126, v9, v126
	v_fma_f16 v130, v119, s7, v130
	v_mul_f16_e32 v129, 0x3853, v129
	v_add_f16_e32 v126, v130, v126
	v_add_f16_e32 v128, v9, v128
	v_fma_f16 v130, v119, s10, -v129
	v_add_f16_e32 v108, v9, v108
	v_fma_f16 v119, v119, s10, v129
	v_sub_f16_e32 v129, v65, v78
	v_add_f16_e32 v127, v9, v127
	v_add_f16_e32 v128, v130, v128
	v_add_f16_e32 v108, v119, v108
	v_add_f16_e32 v119, v63, v76
	v_mul_f16_e32 v130, 0xbbeb, v129
	v_add_f16_e32 v127, v131, v127
	v_fma_f16 v131, v119, s7, -v130
	v_fma_f16 v130, v119, s7, v130
	v_add_f16_e32 v120, v130, v120
	v_mul_f16_e32 v130, 0x3482, v129
	v_add_f16_e32 v121, v131, v121
	v_fma_f16 v131, v119, s14, -v130
	v_fma_f16 v130, v119, s14, v130
	v_add_f16_e32 v122, v130, v122
	v_mul_f16_e32 v130, 0x3b47, v129
	v_add_f16_e32 v123, v131, v123
	v_fma_f16 v131, v119, s6, -v130
	v_fma_f16 v130, v119, s6, v130
	v_add_f16_e32 v124, v130, v124
	v_mul_f16_e32 v130, 0xb853, v129
	v_add_f16_e32 v125, v131, v125
	v_fma_f16 v131, v119, s10, -v130
	v_fma_f16 v130, v119, s10, v130
	v_mul_f16_e32 v129, 0xba0c, v129
	v_add_f16_e32 v126, v130, v126
	v_fma_f16 v130, v119, s11, -v129
	v_fma_f16 v119, v119, s11, v129
	v_sub_f16_e32 v129, v58, v70
	v_add_f16_e32 v128, v130, v128
	v_add_f16_e32 v108, v119, v108
	v_add_f16_e32 v119, v56, v68
	v_mul_f16_e32 v130, 0xba0c, v129
	v_add_f16_e32 v127, v131, v127
	v_fma_f16 v131, v119, s11, -v130
	v_fma_f16 v130, v119, s11, v130
	v_add_f16_e32 v120, v130, v120
	v_mul_f16_e32 v130, 0x3beb, v129
	v_add_f16_e32 v121, v131, v121
	v_fma_f16 v131, v119, s7, -v130
	v_fma_f16 v130, v119, s7, v130
	v_add_f16_e32 v122, v130, v122
	v_mul_f16_e32 v130, 0xb853, v129
	v_add_f16_e32 v123, v131, v123
	v_fma_f16 v131, v119, s10, -v130
	v_fma_f16 v130, v119, s10, v130
	v_add_f16_e32 v124, v130, v124
	v_mul_f16_e32 v130, 0xb482, v129
	v_add_f16_e32 v125, v131, v125
	v_fma_f16 v131, v119, s14, -v130
	v_fma_f16 v130, v119, s14, v130
	v_mul_f16_e32 v129, 0x3b47, v129
	v_add_f16_e32 v126, v130, v126
	v_fma_f16 v130, v119, s6, -v129
	v_fma_f16 v119, v119, s6, v129
	v_sub_f16_e32 v129, v59, v61
	v_add_f16_e32 v128, v130, v128
	v_add_f16_e32 v108, v119, v108
	v_add_f16_e32 v119, v51, v60
	;; [unrolled: 27-line block ×3, first 2 shown]
	v_mul_f16_e32 v130, 0xb853, v129
	v_add_f16_e32 v127, v131, v127
	v_fma_f16 v131, v108, s10, -v130
	v_mul_f16_e32 v132, 0xbb47, v129
	v_mul_f16_e32 v134, 0xbbeb, v129
	;; [unrolled: 1-line block ×4, first 2 shown]
	v_sub_f16_e32 v139, v57, v67
	v_fma_f16 v130, v108, s10, v130
	v_fma_f16 v133, v108, s6, -v132
	v_fma_f16 v132, v108, s6, v132
	v_fma_f16 v135, v108, s7, -v134
	;; [unrolled: 2-line block ×4, first 2 shown]
	v_fma_f16 v108, v108, s14, v129
	v_add_f16_e32 v129, v7, v131
	v_add_f16_e32 v131, v54, v66
	v_mul_f16_e32 v140, 0xbb47, v139
	v_fma_f16 v141, v131, s6, -v140
	v_add_f16_e32 v130, v7, v130
	v_fma_f16 v140, v131, s6, v140
	v_add_f16_e32 v130, v140, v130
	v_mul_f16_e32 v140, 0xba0c, v139
	v_add_f16_e32 v129, v141, v129
	v_fma_f16 v141, v131, s11, -v140
	v_add_f16_e32 v132, v7, v132
	v_fma_f16 v140, v131, s11, v140
	v_add_f16_e32 v133, v7, v133
	v_add_f16_e32 v132, v140, v132
	v_mul_f16_e32 v140, 0x3482, v139
	v_add_f16_e32 v133, v141, v133
	v_fma_f16 v141, v131, s14, -v140
	v_add_f16_e32 v134, v7, v134
	v_fma_f16 v140, v131, s14, v140
	v_add_f16_e32 v135, v7, v135
	v_add_f16_e32 v134, v140, v134
	v_mul_f16_e32 v140, 0x3beb, v139
	v_add_f16_e32 v135, v141, v135
	v_fma_f16 v141, v131, s7, -v140
	v_add_f16_e32 v136, v7, v136
	v_fma_f16 v140, v131, s7, v140
	v_mul_f16_e32 v139, 0x3853, v139
	v_add_f16_e32 v136, v140, v136
	v_add_f16_e32 v138, v7, v138
	v_fma_f16 v140, v131, s10, -v139
	v_fma_f16 v131, v131, s10, v139
	v_add_f16_e32 v108, v7, v108
	v_sub_f16_e32 v139, v52, v55
	v_add_f16_e32 v137, v7, v137
	v_add_f16_e32 v138, v140, v138
	;; [unrolled: 1-line block ×4, first 2 shown]
	v_mul_f16_e32 v140, 0xbbeb, v139
	v_add_f16_e32 v137, v141, v137
	v_fma_f16 v141, v131, s7, -v140
	v_fma_f16 v140, v131, s7, v140
	v_add_f16_e32 v130, v140, v130
	v_mul_f16_e32 v140, 0x3482, v139
	v_add_f16_e32 v129, v141, v129
	v_fma_f16 v141, v131, s14, -v140
	v_fma_f16 v140, v131, s14, v140
	v_add_f16_e32 v132, v140, v132
	v_mul_f16_e32 v140, 0x3b47, v139
	v_add_f16_e32 v133, v141, v133
	v_fma_f16 v141, v131, s6, -v140
	v_fma_f16 v140, v131, s6, v140
	v_add_f16_e32 v134, v140, v134
	v_mul_f16_e32 v140, 0xb853, v139
	v_add_f16_e32 v135, v141, v135
	v_fma_f16 v141, v131, s10, -v140
	v_fma_f16 v140, v131, s10, v140
	v_mul_f16_e32 v139, 0xba0c, v139
	v_add_f16_e32 v136, v140, v136
	v_fma_f16 v140, v131, s11, -v139
	v_fma_f16 v131, v131, s11, v139
	v_sub_f16_e32 v139, v47, v49
	v_add_f16_e32 v138, v140, v138
	v_add_f16_e32 v108, v131, v108
	;; [unrolled: 1-line block ×3, first 2 shown]
	v_mul_f16_e32 v140, 0xba0c, v139
	v_add_f16_e32 v137, v141, v137
	v_fma_f16 v141, v131, s11, -v140
	v_fma_f16 v140, v131, s11, v140
	v_add_f16_e32 v130, v140, v130
	v_mul_f16_e32 v140, 0x3beb, v139
	v_add_f16_e32 v129, v141, v129
	v_fma_f16 v141, v131, s7, -v140
	v_fma_f16 v140, v131, s7, v140
	v_add_f16_e32 v132, v140, v132
	;; [unrolled: 5-line block ×3, first 2 shown]
	v_mul_f16_e32 v140, 0xb482, v139
	v_add_f16_e32 v135, v141, v135
	v_fma_f16 v141, v131, s14, -v140
	v_fma_f16 v140, v131, s14, v140
	v_mul_f16_e32 v139, 0x3b47, v139
	v_add_f16_e32 v136, v140, v136
	v_fma_f16 v140, v131, s6, -v139
	v_fma_f16 v131, v131, s6, v139
	v_sub_f16_e32 v139, v43, v45
	v_add_f16_e32 v138, v140, v138
	v_add_f16_e32 v108, v131, v108
	;; [unrolled: 1-line block ×3, first 2 shown]
	v_mul_f16_e32 v140, 0xb482, v139
	v_add_f16_e32 v137, v141, v137
	v_fma_f16 v141, v131, s14, -v140
	v_fma_f16 v140, v131, s14, v140
	v_add_f16_e32 v130, v140, v130
	v_mul_f16_e32 v140, 0x3853, v139
	v_add_f16_e32 v21, v21, v102
	v_add_f16_e32 v129, v141, v129
	v_fma_f16 v141, v131, s10, -v140
	v_fma_f16 v140, v131, s10, v140
	v_add_f16_e32 v21, v21, v92
	v_add_f16_e32 v7, v7, v62
	;; [unrolled: 1-line block ×3, first 2 shown]
	v_mul_f16_e32 v140, 0xba0c, v139
	v_add_f16_e32 v21, v21, v86
	v_add_f16_e32 v9, v9, v72
	;; [unrolled: 1-line block ×4, first 2 shown]
	v_fma_f16 v141, v131, s11, -v140
	v_fma_f16 v140, v131, s11, v140
	v_add_f16_e32 v21, v21, v82
	v_add_f16_e32 v9, v9, v69
	;; [unrolled: 1-line block ×4, first 2 shown]
	v_mul_f16_e32 v140, 0x3b47, v139
	v_add_f16_e32 v21, v21, v77
	v_add_f16_e32 v9, v9, v63
	;; [unrolled: 1-line block ×4, first 2 shown]
	v_fma_f16 v141, v131, s6, -v140
	v_fma_f16 v140, v131, s6, v140
	v_mul_f16_e32 v139, 0xbbeb, v139
	v_add_f16_e32 v21, v21, v80
	v_add_f16_e32 v9, v9, v56
	;; [unrolled: 1-line block ×4, first 2 shown]
	v_fma_f16 v140, v131, s7, -v139
	v_fma_f16 v131, v131, s7, v139
	v_add_f16_e32 v21, v21, v84
	v_add_f16_e32 v9, v9, v51
	v_add_f16_e32 v7, v7, v44
	v_add_f16_e32 v131, v131, v108
	v_mov_b32_e32 v108, 1
	v_add_f16_e32 v21, v21, v90
	v_add_f16_e32 v9, v9, v60
	;; [unrolled: 1-line block ×3, first 2 shown]
	v_lshlrev_b32_sdwa v101, v108, v101 dst_sel:DWORD dst_unused:UNUSED_PAD src0_sel:DWORD src1_sel:BYTE_0
	v_add_f16_e32 v21, v21, v98
	v_add_f16_e32 v9, v9, v68
	;; [unrolled: 1-line block ×3, first 2 shown]
	v_add3_u32 v100, 0, v100, v101
	v_add_f16_e32 v21, v21, v104
	v_add_f16_e32 v9, v9, v76
	;; [unrolled: 1-line block ×3, first 2 shown]
	s_waitcnt lgkmcnt(0)
	; wave barrier
	ds_write_b16 v100, v21
	ds_write_b16 v100, v111 offset:14
	ds_write_b16 v100, v113 offset:28
	;; [unrolled: 1-line block ×7, first 2 shown]
	v_add_f16_e32 v9, v9, v88
	v_add_f16_e32 v21, v7, v73
	v_mul_u32_u24_e32 v7, 0x9a, v95
	v_lshlrev_b32_sdwa v95, v108, v97 dst_sel:DWORD dst_unused:UNUSED_PAD src0_sel:DWORD src1_sel:BYTE_0
	v_add_f16_e32 v9, v9, v94
	v_add3_u32 v7, 0, v7, v95
	ds_write_b16 v100, v114 offset:112
	ds_write_b16 v100, v112 offset:126
	;; [unrolled: 1-line block ×3, first 2 shown]
	ds_write_b16 v7, v9
	ds_write_b16 v7, v121 offset:14
	ds_write_b16 v7, v123 offset:28
	;; [unrolled: 1-line block ×10, first 2 shown]
	v_mul_u32_u24_e32 v9, 0x9a, v106
	v_lshlrev_b32_sdwa v95, v108, v107 dst_sel:DWORD dst_unused:UNUSED_PAD src0_sel:DWORD src1_sel:BYTE_0
	v_add3_u32 v9, 0, v9, v95
	v_add_f16_e32 v137, v141, v137
	v_add_f16_e32 v138, v140, v138
	ds_write_b16 v9, v21
	ds_write_b16 v9, v129 offset:14
	ds_write_b16 v9, v133 offset:28
	;; [unrolled: 1-line block ×10, first 2 shown]
	s_and_saveexec_b64 s[4:5], s[0:1]
	s_cbranch_execz .LBB0_19
; %bb.18:
	v_sub_f16_e32 v97, v39, v42
	v_add_f16_e32 v95, v37, v41
	v_mul_f16_e32 v101, 0xb482, v97
	v_sub_f16_e32 v109, v36, v40
	v_fma_f16 v106, v95, s14, v101
	v_add_f16_e32 v107, v34, v38
	v_mul_f16_e32 v110, 0x3853, v109
	v_add_f16_e32 v106, v6, v106
	v_fma_f16 v111, v107, s10, v110
	v_sub_f16_e32 v112, v32, v35
	v_add_f16_e32 v106, v111, v106
	v_add_f16_e32 v111, v31, v33
	v_mul_f16_e32 v113, 0xba0c, v112
	v_fma_f16 v114, v111, s11, v113
	v_sub_f16_e32 v115, v28, v30
	v_fma_f16 v101, v95, s14, -v101
	v_add_f16_e32 v106, v114, v106
	v_add_f16_e32 v114, v27, v29
	v_mul_f16_e32 v116, 0x3b47, v115
	v_add_f16_e32 v101, v6, v101
	v_fma_f16 v110, v107, s10, -v110
	v_fma_f16 v117, v114, s6, v116
	v_sub_f16_e32 v118, v24, v26
	v_add_f16_e32 v101, v110, v101
	v_fma_f16 v110, v111, s11, -v113
	v_add_f16_e32 v106, v117, v106
	v_add_f16_e32 v117, v20, v25
	v_mul_f16_e32 v119, 0xbbeb, v118
	v_add_f16_e32 v101, v110, v101
	v_fma_f16 v110, v114, s6, -v116
	v_add_f16_e32 v101, v110, v101
	v_fma_f16 v110, v117, s7, -v119
	v_add_f16_e32 v101, v110, v101
	v_mul_f16_e32 v110, 0xba0c, v97
	v_fma_f16 v113, v95, s11, v110
	v_mul_f16_e32 v116, 0x3beb, v109
	v_fma_f16 v120, v117, s7, v119
	v_add_f16_e32 v113, v6, v113
	v_fma_f16 v119, v107, s7, v116
	v_add_f16_e32 v113, v119, v113
	v_mul_f16_e32 v119, 0xb853, v112
	v_add_f16_e32 v106, v120, v106
	v_fma_f16 v120, v111, s10, v119
	v_fma_f16 v110, v95, s11, -v110
	v_add_f16_e32 v113, v120, v113
	v_mul_f16_e32 v120, 0xb482, v115
	v_add_f16_e32 v110, v6, v110
	v_fma_f16 v116, v107, s7, -v116
	v_fma_f16 v121, v114, s14, v120
	v_add_f16_e32 v110, v116, v110
	v_fma_f16 v116, v111, s10, -v119
	v_add_f16_e32 v113, v121, v113
	v_mul_f16_e32 v121, 0x3b47, v118
	v_add_f16_e32 v110, v116, v110
	v_fma_f16 v116, v114, s14, -v120
	v_add_f16_e32 v110, v116, v110
	v_fma_f16 v116, v117, s6, -v121
	v_add_f16_e32 v110, v116, v110
	v_mul_f16_e32 v116, 0xbbeb, v97
	v_fma_f16 v119, v95, s7, v116
	v_mul_f16_e32 v120, 0x3482, v109
	v_fma_f16 v122, v117, s6, v121
	v_add_f16_e32 v119, v6, v119
	v_fma_f16 v121, v107, s14, v120
	v_add_f16_e32 v119, v121, v119
	v_mul_f16_e32 v121, 0x3b47, v112
	v_add_f16_e32 v113, v122, v113
	v_fma_f16 v122, v111, s6, v121
	v_fma_f16 v116, v95, s7, -v116
	v_add_f16_e32 v119, v122, v119
	v_mul_f16_e32 v122, 0xb853, v115
	v_add_f16_e32 v116, v6, v116
	v_fma_f16 v120, v107, s14, -v120
	v_fma_f16 v123, v114, s10, v122
	v_add_f16_e32 v116, v120, v116
	v_fma_f16 v120, v111, s6, -v121
	v_add_f16_e32 v119, v123, v119
	v_mul_f16_e32 v123, 0xba0c, v118
	v_add_f16_e32 v116, v120, v116
	v_fma_f16 v120, v114, s10, -v122
	v_add_f16_e32 v116, v120, v116
	v_fma_f16 v120, v117, s11, -v123
	v_add_f16_e32 v116, v120, v116
	v_mul_f16_e32 v120, 0xbb47, v97
	v_fma_f16 v121, v95, s6, v120
	v_mul_f16_e32 v122, 0xba0c, v109
	v_fma_f16 v124, v117, s11, v123
	v_add_f16_e32 v121, v6, v121
	v_fma_f16 v123, v107, s11, v122
	v_add_f16_e32 v121, v123, v121
	v_mul_f16_e32 v123, 0x3482, v112
	v_add_f16_e32 v119, v124, v119
	v_fma_f16 v124, v111, s14, v123
	v_fma_f16 v120, v95, s6, -v120
	v_add_f16_e32 v121, v124, v121
	v_mul_f16_e32 v124, 0x3beb, v115
	v_add_f16_e32 v120, v6, v120
	v_fma_f16 v122, v107, s11, -v122
	v_add_f16_e32 v21, v6, v37
	v_fma_f16 v125, v114, s7, v124
	v_add_f16_e32 v120, v122, v120
	v_fma_f16 v122, v111, s14, -v123
	v_add_f16_e32 v21, v21, v34
	v_add_f16_e32 v121, v125, v121
	v_mul_f16_e32 v125, 0x3853, v118
	v_add_f16_e32 v120, v122, v120
	v_fma_f16 v122, v114, s7, -v124
	v_add_f16_e32 v21, v21, v31
	v_add_f16_e32 v120, v122, v120
	v_fma_f16 v122, v117, s10, -v125
	v_mul_f16_e32 v97, 0xb853, v97
	v_add_f16_e32 v21, v21, v27
	v_add_f16_e32 v120, v122, v120
	v_fma_f16 v122, v95, s10, v97
	v_mul_f16_e32 v109, 0xbb47, v109
	v_fma_f16 v95, v95, s10, -v97
	v_add_f16_e32 v21, v21, v20
	v_add_f16_e32 v122, v6, v122
	v_mul_f16_e32 v112, 0xbbeb, v112
	v_add_f16_e32 v6, v6, v95
	v_fma_f16 v95, v107, s6, -v109
	v_add_f16_e32 v21, v21, v25
	v_mul_f16_e32 v115, 0xba0c, v115
	v_add_f16_e32 v6, v95, v6
	v_fma_f16 v95, v111, s7, -v112
	v_add_f16_e32 v21, v21, v29
	v_fma_f16 v123, v107, s6, v109
	v_mul_f16_e32 v118, 0xb482, v118
	v_add_f16_e32 v6, v95, v6
	v_fma_f16 v95, v114, s11, -v115
	v_add_f16_e32 v21, v21, v33
	v_add_f16_e32 v122, v123, v122
	v_fma_f16 v123, v111, s7, v112
	v_add_f16_e32 v6, v95, v6
	v_fma_f16 v95, v117, s14, -v118
	v_add_f16_e32 v21, v21, v38
	v_add_f16_e32 v122, v123, v122
	v_fma_f16 v123, v114, s11, v115
	v_add_f16_e32 v6, v95, v6
	v_mul_u32_u24_e32 v95, 0x9a, v1
	v_lshlrev_b32_sdwa v97, v108, v2 dst_sel:DWORD dst_unused:UNUSED_PAD src0_sel:DWORD src1_sel:BYTE_0
	v_add_f16_e32 v21, v21, v41
	v_fma_f16 v126, v117, s10, v125
	v_add_f16_e32 v122, v123, v122
	v_fma_f16 v123, v117, s14, v118
	v_add3_u32 v95, 0, v95, v97
	v_add_f16_e32 v121, v126, v121
	v_add_f16_e32 v122, v123, v122
	ds_write_b16 v95, v21
	ds_write_b16 v95, v6 offset:14
	ds_write_b16 v95, v120 offset:28
	;; [unrolled: 1-line block ×10, first 2 shown]
.LBB0_19:
	s_or_b64 exec, exec, s[4:5]
	v_add_f16_e32 v6, v22, v103
	v_add_f16_e32 v6, v6, v93
	v_add_f16_e32 v6, v6, v87
	v_add_f16_e32 v6, v6, v83
	v_add_f16_e32 v6, v6, v79
	v_add_f16_e32 v6, v6, v81
	v_add_f16_e32 v6, v6, v85
	v_add_f16_e32 v6, v6, v91
	v_sub_f16_e32 v95, v102, v104
	v_add_f16_e32 v6, v6, v99
	v_add_f16_e32 v21, v103, v105
	v_mul_f16_e32 v97, 0xb853, v95
	v_mul_f16_e32 v102, 0xbb47, v95
	;; [unrolled: 1-line block ×5, first 2 shown]
	v_add_f16_e32 v6, v6, v105
	v_fma_f16 v101, v21, s10, v97
	v_fma_f16 v97, v21, s10, -v97
	v_fma_f16 v103, v21, s6, v102
	v_fma_f16 v102, v21, s6, -v102
	;; [unrolled: 2-line block ×5, first 2 shown]
	v_sub_f16_e32 v92, v92, v98
	v_add_f16_e32 v101, v22, v101
	v_add_f16_e32 v97, v22, v97
	;; [unrolled: 1-line block ×11, first 2 shown]
	v_mul_f16_e32 v93, 0xbb47, v92
	v_fma_f16 v95, v22, s6, v93
	v_fma_f16 v93, v22, s6, -v93
	v_add_f16_e32 v93, v93, v97
	v_mul_f16_e32 v97, 0xba0c, v92
	v_fma_f16 v98, v22, s11, v97
	v_fma_f16 v97, v22, s11, -v97
	v_mul_f16_e32 v99, 0x3482, v92
	v_add_f16_e32 v95, v95, v101
	v_add_f16_e32 v97, v97, v102
	v_fma_f16 v101, v22, s14, v99
	v_fma_f16 v99, v22, s14, -v99
	v_mul_f16_e32 v102, 0x3beb, v92
	v_mul_f16_e32 v92, 0x3853, v92
	v_add_f16_e32 v98, v98, v103
	v_add_f16_e32 v99, v99, v104
	v_fma_f16 v103, v22, s7, v102
	v_fma_f16 v102, v22, s7, -v102
	v_fma_f16 v104, v22, s10, v92
	v_fma_f16 v22, v22, s10, -v92
	v_sub_f16_e32 v86, v86, v90
	v_add_f16_e32 v21, v22, v21
	v_add_f16_e32 v22, v87, v91
	v_mul_f16_e32 v87, 0xbbeb, v86
	v_fma_f16 v90, v22, s7, v87
	v_fma_f16 v87, v22, s7, -v87
	v_mul_f16_e32 v91, 0x3482, v86
	v_add_f16_e32 v87, v87, v93
	v_fma_f16 v92, v22, s14, v91
	v_fma_f16 v91, v22, s14, -v91
	v_mul_f16_e32 v93, 0x3b47, v86
	v_add_f16_e32 v90, v90, v95
	v_add_f16_e32 v91, v91, v97
	v_fma_f16 v95, v22, s6, v93
	v_fma_f16 v93, v22, s6, -v93
	v_mul_f16_e32 v97, 0xb853, v86
	v_mul_f16_e32 v86, 0xba0c, v86
	v_add_f16_e32 v92, v92, v98
	v_add_f16_e32 v93, v93, v99
	v_fma_f16 v98, v22, s10, v97
	v_fma_f16 v97, v22, s10, -v97
	v_fma_f16 v99, v22, s11, v86
	v_fma_f16 v22, v22, s11, -v86
	v_sub_f16_e32 v82, v82, v84
	v_add_f16_e32 v21, v22, v21
	v_add_f16_e32 v22, v83, v85
	v_mul_f16_e32 v83, 0xba0c, v82
	v_fma_f16 v84, v22, s11, v83
	v_fma_f16 v83, v22, s11, -v83
	v_mul_f16_e32 v85, 0x3beb, v82
	v_add_f16_e32 v83, v83, v87
	;; [unrolled: 23-line block ×3, first 2 shown]
	v_fma_f16 v82, v22, s10, v81
	v_fma_f16 v81, v22, s10, -v81
	v_mul_f16_e32 v83, 0xba0c, v77
	v_add_f16_e32 v80, v80, v84
	v_add_f16_e32 v81, v81, v85
	v_fma_f16 v84, v22, s11, v83
	v_fma_f16 v83, v22, s11, -v83
	v_mul_f16_e32 v85, 0x3b47, v77
	v_mul_f16_e32 v77, 0xbbeb, v77
	v_add_f16_e32 v82, v82, v86
	v_add_f16_e32 v83, v83, v87
	v_fma_f16 v86, v22, s6, v85
	v_fma_f16 v85, v22, s6, -v85
	v_fma_f16 v87, v22, s7, v77
	v_fma_f16 v22, v22, s7, -v77
	v_add_f16_e32 v21, v22, v21
	v_add_f16_e32 v22, v8, v75
	;; [unrolled: 1-line block ×20, first 2 shown]
	v_sub_f16_e32 v72, v72, v94
	v_add_f16_e32 v90, v90, v95
	v_add_f16_e32 v92, v92, v98
	;; [unrolled: 1-line block ×6, first 2 shown]
	v_mul_f16_e32 v75, 0xb853, v72
	v_mul_f16_e32 v91, 0xbb47, v72
	;; [unrolled: 1-line block ×5, first 2 shown]
	v_add_f16_e32 v84, v84, v90
	v_add_f16_e32 v86, v86, v92
	v_fma_f16 v90, v22, s10, v75
	v_fma_f16 v75, v22, s10, -v75
	v_fma_f16 v92, v22, s6, v91
	v_fma_f16 v91, v22, s6, -v91
	;; [unrolled: 2-line block ×5, first 2 shown]
	v_sub_f16_e32 v69, v69, v88
	v_add_f16_e32 v90, v8, v90
	v_add_f16_e32 v75, v8, v75
	;; [unrolled: 1-line block ×11, first 2 shown]
	v_mul_f16_e32 v71, 0xbb47, v69
	v_fma_f16 v72, v22, s6, v71
	v_fma_f16 v71, v22, s6, -v71
	v_add_f16_e32 v71, v71, v75
	v_mul_f16_e32 v75, 0xba0c, v69
	v_fma_f16 v88, v22, s11, v75
	v_fma_f16 v75, v22, s11, -v75
	v_mul_f16_e32 v89, 0x3482, v69
	v_add_f16_e32 v72, v72, v90
	v_add_f16_e32 v75, v75, v91
	v_fma_f16 v90, v22, s14, v89
	v_fma_f16 v89, v22, s14, -v89
	v_mul_f16_e32 v91, 0x3beb, v69
	v_mul_f16_e32 v69, 0x3853, v69
	v_add_f16_e32 v88, v88, v92
	v_add_f16_e32 v89, v89, v93
	v_fma_f16 v92, v22, s7, v91
	v_fma_f16 v91, v22, s7, -v91
	v_fma_f16 v93, v22, s10, v69
	v_fma_f16 v22, v22, s10, -v69
	v_sub_f16_e32 v63, v63, v76
	v_add_f16_e32 v8, v22, v8
	v_add_f16_e32 v22, v65, v78
	v_mul_f16_e32 v65, 0xbbeb, v63
	v_fma_f16 v69, v22, s7, v65
	v_fma_f16 v65, v22, s7, -v65
	v_add_f16_e32 v65, v65, v71
	v_mul_f16_e32 v71, 0x3482, v63
	v_add_f16_e32 v69, v69, v72
	v_fma_f16 v72, v22, s14, v71
	v_fma_f16 v71, v22, s14, -v71
	v_add_f16_e32 v71, v71, v75
	v_mul_f16_e32 v75, 0x3b47, v63
	v_fma_f16 v76, v22, s6, v75
	v_fma_f16 v75, v22, s6, -v75
	v_mul_f16_e32 v78, 0xb853, v63
	v_mul_f16_e32 v63, 0xba0c, v63
	v_add_f16_e32 v72, v72, v88
	v_add_f16_e32 v75, v75, v89
	v_fma_f16 v88, v22, s10, v78
	v_fma_f16 v78, v22, s10, -v78
	v_fma_f16 v89, v22, s11, v63
	v_fma_f16 v22, v22, s11, -v63
	v_sub_f16_e32 v56, v56, v68
	v_add_f16_e32 v8, v22, v8
	v_add_f16_e32 v22, v58, v70
	v_mul_f16_e32 v58, 0xba0c, v56
	v_fma_f16 v63, v22, s11, v58
	v_fma_f16 v58, v22, s11, -v58
	v_add_f16_e32 v58, v58, v65
	v_mul_f16_e32 v65, 0x3beb, v56
	v_add_f16_e32 v63, v63, v69
	v_fma_f16 v68, v22, s7, v65
	v_fma_f16 v65, v22, s7, -v65
	v_mul_f16_e32 v69, 0xb853, v56
	v_add_f16_e32 v65, v65, v71
	v_fma_f16 v70, v22, s10, v69
	v_fma_f16 v69, v22, s10, -v69
	v_mul_f16_e32 v71, 0xb482, v56
	v_mul_f16_e32 v56, 0x3b47, v56
	v_add_f16_e32 v68, v68, v72
	v_add_f16_e32 v69, v69, v75
	v_fma_f16 v72, v22, s14, v71
	v_fma_f16 v71, v22, s14, -v71
	v_fma_f16 v75, v22, s6, v56
	v_fma_f16 v22, v22, s6, -v56
	v_sub_f16_e32 v51, v51, v60
	v_add_f16_e32 v92, v92, v96
	v_add_f16_e32 v8, v22, v8
	;; [unrolled: 1-line block ×3, first 2 shown]
	v_mul_f16_e32 v56, 0xb482, v51
	v_add_f16_e32 v88, v88, v92
	v_fma_f16 v59, v22, s14, v56
	v_fma_f16 v56, v22, s14, -v56
	v_add_f16_e32 v72, v72, v88
	v_add_f16_e32 v88, v56, v58
	v_mul_f16_e32 v56, 0x3853, v51
	v_add_f16_e32 v90, v90, v94
	v_add_f16_e32 v93, v93, v97
	v_fma_f16 v58, v22, s10, v56
	v_fma_f16 v56, v22, s10, -v56
	v_add_f16_e32 v76, v76, v90
	v_add_f16_e32 v89, v89, v93
	;; [unrolled: 1-line block ×3, first 2 shown]
	v_mul_f16_e32 v56, 0xba0c, v51
	v_add_f16_e32 v91, v91, v95
	v_add_f16_e32 v75, v75, v89
	;; [unrolled: 1-line block ×3, first 2 shown]
	v_fma_f16 v58, v22, s11, v56
	v_fma_f16 v56, v22, s11, -v56
	v_add_f16_e32 v78, v78, v91
	v_add_f16_e32 v70, v70, v76
	;; [unrolled: 1-line block ×3, first 2 shown]
	v_mul_f16_e32 v56, 0x3b47, v51
	v_add_f16_e32 v71, v71, v78
	v_add_f16_e32 v91, v58, v70
	v_fma_f16 v58, v22, s6, v56
	v_fma_f16 v56, v22, s6, -v56
	v_mul_f16_e32 v51, 0xbbeb, v51
	v_add_f16_e32 v94, v56, v71
	v_fma_f16 v56, v22, s7, v51
	v_fma_f16 v22, v22, s7, -v51
	v_add_f16_e32 v8, v22, v8
	v_add_f16_e32 v22, v3, v64
	;; [unrolled: 1-line block ×10, first 2 shown]
	v_sub_f16_e32 v51, v62, v73
	v_add_f16_e32 v78, v59, v63
	v_add_f16_e32 v95, v56, v75
	;; [unrolled: 1-line block ×4, first 2 shown]
	v_mul_f16_e32 v56, 0xb853, v51
	v_mul_f16_e32 v59, 0xbb47, v51
	;; [unrolled: 1-line block ×5, first 2 shown]
	v_add_f16_e32 v93, v58, v72
	v_fma_f16 v58, v22, s10, v56
	v_fma_f16 v56, v22, s10, -v56
	v_fma_f16 v60, v22, s6, v59
	v_fma_f16 v59, v22, s6, -v59
	;; [unrolled: 2-line block ×5, first 2 shown]
	v_sub_f16_e32 v51, v54, v66
	v_add_f16_e32 v58, v3, v58
	v_add_f16_e32 v56, v3, v56
	;; [unrolled: 1-line block ×11, first 2 shown]
	v_mul_f16_e32 v54, 0xbb47, v51
	v_fma_f16 v57, v22, s6, v54
	v_fma_f16 v54, v22, s6, -v54
	v_add_f16_e32 v54, v54, v56
	v_mul_f16_e32 v56, 0xba0c, v51
	v_add_f16_e32 v57, v57, v58
	v_fma_f16 v58, v22, s11, v56
	v_fma_f16 v56, v22, s11, -v56
	v_add_f16_e32 v56, v56, v59
	v_mul_f16_e32 v59, 0x3482, v51
	v_add_f16_e32 v58, v58, v60
	;; [unrolled: 5-line block ×3, first 2 shown]
	v_fma_f16 v62, v22, s7, v61
	v_fma_f16 v61, v22, s7, -v61
	v_mul_f16_e32 v51, 0x3853, v51
	v_add_f16_e32 v61, v61, v63
	v_fma_f16 v63, v22, s10, v51
	v_fma_f16 v22, v22, s10, -v51
	v_sub_f16_e32 v50, v50, v53
	v_add_f16_e32 v3, v22, v3
	v_add_f16_e32 v22, v52, v55
	v_mul_f16_e32 v51, 0xbbeb, v50
	v_fma_f16 v52, v22, s7, v51
	v_fma_f16 v51, v22, s7, -v51
	v_mul_f16_e32 v53, 0x3482, v50
	v_add_f16_e32 v51, v51, v54
	v_fma_f16 v54, v22, s14, v53
	v_fma_f16 v53, v22, s14, -v53
	v_mul_f16_e32 v55, 0x3b47, v50
	v_add_f16_e32 v52, v52, v57
	v_add_f16_e32 v53, v53, v56
	v_fma_f16 v56, v22, s6, v55
	v_fma_f16 v55, v22, s6, -v55
	v_mul_f16_e32 v57, 0xb853, v50
	v_mul_f16_e32 v50, 0xba0c, v50
	v_add_f16_e32 v54, v54, v58
	v_add_f16_e32 v55, v55, v59
	v_fma_f16 v58, v22, s10, v57
	v_fma_f16 v57, v22, s10, -v57
	v_fma_f16 v59, v22, s11, v50
	v_fma_f16 v22, v22, s11, -v50
	v_sub_f16_e32 v46, v46, v48
	v_add_f16_e32 v3, v22, v3
	v_add_f16_e32 v22, v47, v49
	v_mul_f16_e32 v47, 0xba0c, v46
	v_fma_f16 v48, v22, s11, v47
	v_fma_f16 v47, v22, s11, -v47
	v_mul_f16_e32 v49, 0x3beb, v46
	v_add_f16_e32 v47, v47, v51
	v_fma_f16 v50, v22, s7, v49
	v_fma_f16 v49, v22, s7, -v49
	v_mul_f16_e32 v51, 0xb853, v46
	v_add_f16_e32 v48, v48, v52
	v_add_f16_e32 v49, v49, v53
	v_fma_f16 v52, v22, s10, v51
	v_fma_f16 v51, v22, s10, -v51
	v_mul_f16_e32 v53, 0xb482, v46
	v_mul_f16_e32 v46, 0x3b47, v46
	v_add_f16_e32 v50, v50, v54
	v_add_f16_e32 v51, v51, v55
	v_fma_f16 v54, v22, s14, v53
	v_fma_f16 v53, v22, s14, -v53
	v_fma_f16 v55, v22, s6, v46
	v_fma_f16 v22, v22, s6, -v46
	v_sub_f16_e32 v23, v23, v44
	v_add_f16_e32 v3, v22, v3
	v_add_f16_e32 v22, v43, v45
	v_mul_f16_e32 v43, 0xb482, v23
	v_fma_f16 v44, v22, s14, v43
	v_fma_f16 v43, v22, s14, -v43
	v_add_f16_e32 v98, v43, v47
	v_mul_f16_e32 v43, 0x3853, v23
	v_add_f16_e32 v97, v44, v48
	v_fma_f16 v44, v22, s10, v43
	v_fma_f16 v43, v22, s10, -v43
	v_add_f16_e32 v101, v43, v49
	v_mul_f16_e32 v43, 0xba0c, v23
	v_add_f16_e32 v56, v56, v60
	v_add_f16_e32 v99, v44, v50
	v_fma_f16 v44, v22, s11, v43
	v_fma_f16 v43, v22, s11, -v43
	v_add_f16_e32 v62, v62, v64
	v_add_f16_e32 v63, v63, v65
	;; [unrolled: 1-line block ×5, first 2 shown]
	v_mul_f16_e32 v43, 0x3b47, v23
	v_add_f16_e32 v58, v58, v62
	v_add_f16_e32 v59, v59, v63
	;; [unrolled: 1-line block ×4, first 2 shown]
	v_fma_f16 v44, v22, s6, v43
	v_fma_f16 v43, v22, s6, -v43
	v_mul_f16_e32 v23, 0xbbeb, v23
	v_add_f16_e32 v54, v54, v58
	v_add_f16_e32 v55, v55, v59
	;; [unrolled: 1-line block ×3, first 2 shown]
	v_fma_f16 v43, v22, s7, v23
	v_fma_f16 v22, v22, s7, -v23
	v_add_f16_e32 v104, v44, v54
	v_add_f16_e32 v106, v43, v55
	v_add_f16_e32 v107, v22, v3
	s_waitcnt lgkmcnt(0)
	; wave barrier
	s_waitcnt lgkmcnt(0)
	ds_read_u16 v61, v16 offset:3190
	ds_read_u16 v47, v17
	ds_read_u16 v46, v18
	;; [unrolled: 1-line block ×3, first 2 shown]
	v_lshl_add_u32 v22, v15, 1, 0
	v_lshl_add_u32 v23, v10, 1, 0
	ds_read_u16 v74, v16 offset:1540
	ds_read_u16 v69, v16 offset:1650
	;; [unrolled: 1-line block ×17, first 2 shown]
	ds_read_u16 v48, v16
	ds_read_u16 v76, v16 offset:770
	ds_read_u16 v72, v16 offset:880
	;; [unrolled: 1-line block ×11, first 2 shown]
	ds_read_u16 v44, v22
	ds_read_u16 v52, v16 offset:3740
	s_waitcnt lgkmcnt(0)
	; wave barrier
	s_waitcnt lgkmcnt(0)
	ds_write_b16 v100, v6
	ds_write_b16 v100, v80 offset:14
	ds_write_b16 v100, v82 offset:28
	ds_write_b16 v100, v84 offset:42
	ds_write_b16 v100, v86 offset:56
	ds_write_b16 v100, v87 offset:70
	ds_write_b16 v100, v21 offset:84
	ds_write_b16 v100, v85 offset:98
	ds_write_b16 v100, v83 offset:112
	ds_write_b16 v100, v81 offset:126
	ds_write_b16 v100, v79 offset:140
	ds_write_b16 v7, v77
	ds_write_b16 v7, v78 offset:14
	ds_write_b16 v7, v89 offset:28
	ds_write_b16 v7, v91 offset:42
	ds_write_b16 v7, v93 offset:56
	ds_write_b16 v7, v95 offset:70
	ds_write_b16 v7, v8 offset:84
	ds_write_b16 v7, v94 offset:98
	ds_write_b16 v7, v92 offset:112
	ds_write_b16 v7, v90 offset:126
	ds_write_b16 v7, v88 offset:140
	ds_write_b16 v9, v96
	ds_write_b16 v9, v97 offset:14
	ds_write_b16 v9, v99 offset:28
	ds_write_b16 v9, v102 offset:42
	ds_write_b16 v9, v104 offset:56
	ds_write_b16 v9, v106 offset:70
	ds_write_b16 v9, v107 offset:84
	ds_write_b16 v9, v105 offset:98
	ds_write_b16 v9, v103 offset:112
	ds_write_b16 v9, v101 offset:126
	ds_write_b16 v9, v98 offset:140
	s_and_saveexec_b64 s[4:5], s[0:1]
	s_cbranch_execz .LBB0_21
; %bb.20:
	v_add_f16_e32 v6, v0, v39
	v_add_f16_e32 v6, v6, v36
	v_add_f16_e32 v6, v6, v32
	v_add_f16_e32 v6, v6, v28
	v_add_f16_e32 v6, v6, v24
	v_add_f16_e32 v6, v6, v26
	v_add_f16_e32 v6, v6, v30
	v_add_f16_e32 v6, v6, v35
	v_sub_f16_e32 v8, v37, v41
	v_add_f16_e32 v6, v6, v40
	v_add_f16_e32 v7, v39, v42
	v_mul_f16_e32 v9, 0xb853, v8
	s_movk_i32 s0, 0x3abb
	v_mul_f16_e32 v37, 0xbb47, v8
	s_movk_i32 s1, 0x36a6
	v_mul_f16_e32 v41, 0xbbeb, v8
	s_mov_b32 s6, 0xb08e
	v_mul_f16_e32 v77, 0xba0c, v8
	s_mov_b32 s7, 0xb93d
	;; [unrolled: 2-line block ×3, first 2 shown]
	v_add_f16_e32 v6, v6, v42
	v_fma_f16 v21, v7, s0, v9
	v_fma_f16 v9, v7, s0, -v9
	v_fma_f16 v39, v7, s1, v37
	v_fma_f16 v37, v7, s1, -v37
	;; [unrolled: 2-line block ×5, first 2 shown]
	v_sub_f16_e32 v8, v34, v38
	v_add_f16_e32 v21, v0, v21
	v_add_f16_e32 v9, v0, v9
	;; [unrolled: 1-line block ×11, first 2 shown]
	v_mul_f16_e32 v34, 0xbb47, v8
	v_fma_f16 v36, v7, s1, v34
	v_fma_f16 v34, v7, s1, -v34
	v_add_f16_e32 v9, v34, v9
	v_mul_f16_e32 v34, 0xba0c, v8
	v_add_f16_e32 v21, v36, v21
	v_fma_f16 v36, v7, s7, v34
	v_fma_f16 v34, v7, s7, -v34
	v_add_f16_e32 v34, v34, v37
	v_mul_f16_e32 v37, 0x3482, v8
	v_add_f16_e32 v36, v36, v39
	v_fma_f16 v38, v7, s10, v37
	v_fma_f16 v37, v7, s10, -v37
	v_mul_f16_e32 v39, 0x3beb, v8
	v_mul_f16_e32 v8, 0x3853, v8
	v_add_f16_e32 v37, v37, v41
	v_fma_f16 v40, v7, s6, v39
	v_fma_f16 v39, v7, s6, -v39
	v_fma_f16 v41, v7, s0, v8
	v_fma_f16 v7, v7, s0, -v8
	v_sub_f16_e32 v8, v31, v33
	v_add_f16_e32 v0, v7, v0
	v_add_f16_e32 v7, v32, v35
	v_mul_f16_e32 v31, 0xbbeb, v8
	v_fma_f16 v32, v7, s6, v31
	v_fma_f16 v31, v7, s6, -v31
	v_add_f16_e32 v9, v31, v9
	v_mul_f16_e32 v31, 0x3482, v8
	v_add_f16_e32 v21, v32, v21
	v_fma_f16 v32, v7, s10, v31
	v_fma_f16 v31, v7, s10, -v31
	v_mul_f16_e32 v33, 0x3b47, v8
	v_add_f16_e32 v31, v31, v34
	v_fma_f16 v34, v7, s1, v33
	v_fma_f16 v33, v7, s1, -v33
	v_mul_f16_e32 v35, 0xb853, v8
	v_mul_f16_e32 v8, 0xba0c, v8
	v_add_f16_e32 v32, v32, v36
	v_add_f16_e32 v33, v33, v37
	v_fma_f16 v36, v7, s0, v35
	v_fma_f16 v35, v7, s0, -v35
	v_fma_f16 v37, v7, s7, v8
	v_fma_f16 v7, v7, s7, -v8
	v_sub_f16_e32 v8, v27, v29
	v_add_f16_e32 v0, v7, v0
	v_add_f16_e32 v7, v28, v30
	v_mul_f16_e32 v27, 0xba0c, v8
	v_fma_f16 v28, v7, s7, v27
	v_fma_f16 v27, v7, s7, -v27
	v_add_f16_e32 v9, v27, v9
	v_mul_f16_e32 v27, 0x3beb, v8
	v_add_f16_e32 v21, v28, v21
	v_fma_f16 v28, v7, s6, v27
	v_fma_f16 v27, v7, s6, -v27
	v_mul_f16_e32 v29, 0xb853, v8
	v_add_f16_e32 v27, v27, v31
	v_fma_f16 v30, v7, s0, v29
	v_fma_f16 v29, v7, s0, -v29
	v_mul_f16_e32 v31, 0xb482, v8
	v_mul_f16_e32 v8, 0x3b47, v8
	v_add_f16_e32 v28, v28, v32
	;; [unrolled: 23-line block ×3, first 2 shown]
	v_add_f16_e32 v25, v25, v29
	v_fma_f16 v28, v7, s1, v27
	v_fma_f16 v27, v7, s1, -v27
	v_fma_f16 v29, v7, s6, v8
	v_fma_f16 v7, v7, s6, -v8
	v_add_f16_e32 v38, v38, v42
	v_add_f16_e32 v40, v40, v78
	;; [unrolled: 1-line block ×5, first 2 shown]
	v_mov_b32_e32 v7, 1
	v_add_f16_e32 v34, v34, v38
	v_add_f16_e32 v36, v36, v40
	;; [unrolled: 1-line block ×4, first 2 shown]
	v_mul_u32_u24_e32 v1, 0x9a, v1
	v_lshlrev_b32_sdwa v2, v7, v2 dst_sel:DWORD dst_unused:UNUSED_PAD src0_sel:DWORD src1_sel:BYTE_0
	v_add_f16_e32 v30, v30, v34
	v_add_f16_e32 v32, v32, v36
	;; [unrolled: 1-line block ×4, first 2 shown]
	v_add3_u32 v1, 0, v1, v2
	v_add_f16_e32 v26, v26, v30
	v_add_f16_e32 v28, v28, v32
	;; [unrolled: 1-line block ×4, first 2 shown]
	ds_write_b16 v1, v6
	ds_write_b16 v1, v21 offset:14
	ds_write_b16 v1, v24 offset:28
	;; [unrolled: 1-line block ×10, first 2 shown]
.LBB0_21:
	s_or_b64 exec, exec, s[4:5]
	v_lshlrev_b32_e32 v8, 2, v10
	v_mov_b32_e32 v9, 0
	v_lshlrev_b64 v[0:1], 2, v[8:9]
	v_mov_b32_e32 v24, s9
	v_add_co_u32_e64 v6, s[0:1], s8, v0
	v_addc_co_u32_e64 v7, s[0:1], v24, v1, s[0:1]
	s_waitcnt lgkmcnt(0)
	; wave barrier
	s_waitcnt lgkmcnt(0)
	global_load_dwordx4 v[30:33], v[6:7], off offset:280
	v_subrev_u32_e32 v0, 22, v10
	v_cmp_gt_u32_e64 s[0:1], 22, v10
	v_cndmask_b32_e64 v0, v0, v14, s[0:1]
	v_lshlrev_b32_e32 v8, 2, v0
	v_lshlrev_b64 v[1:2], 2, v[8:9]
	v_mov_b32_e32 v8, 4
	v_add_co_u32_e64 v1, s[0:1], s8, v1
	v_addc_co_u32_e64 v2, s[0:1], v24, v2, s[0:1]
	global_load_dwordx4 v[34:37], v[1:2], off offset:280
	s_movk_i32 s0, 0xd5
	v_mul_lo_u16_sdwa v1, v12, s0 dst_sel:DWORD dst_unused:UNUSED_PAD src0_sel:BYTE_0 src1_sel:DWORD
	v_lshrrev_b16_e32 v1, 14, v1
	v_mul_lo_u16_e32 v2, 0x4d, v1
	v_sub_u16_e32 v2, v12, v2
	v_lshlrev_b32_sdwa v8, v8, v2 dst_sel:DWORD dst_unused:UNUSED_PAD src0_sel:DWORD src1_sel:BYTE_0
	ds_read_u16 v42, v16 offset:3190
	ds_read_u16 v89, v17
	ds_read_u16 v90, v18
	;; [unrolled: 1-line block ×3, first 2 shown]
	ds_read_u16 v92, v16 offset:1540
	ds_read_u16 v93, v16 offset:1650
	;; [unrolled: 1-line block ×6, first 2 shown]
	global_load_dwordx4 v[38:41], v8, s[8:9] offset:280
	v_mul_lo_u16_sdwa v8, v13, s0 dst_sel:DWORD dst_unused:UNUSED_PAD src0_sel:BYTE_0 src1_sel:DWORD
	v_lshrrev_b16_e32 v8, 14, v8
	v_mul_lo_u16_e32 v8, 0x4d, v8
	v_sub_u16_e32 v8, v13, v8
	v_and_b32_e32 v8, 0xff, v8
	v_lshlrev_b32_e32 v25, 4, v8
	s_movk_i32 s0, 0x1a99
	ds_read_u16 v98, v16 offset:2420
	ds_read_u16 v99, v16 offset:2530
	;; [unrolled: 1-line block ×11, first 2 shown]
	global_load_dwordx4 v[77:80], v25, s[8:9] offset:280
	v_mul_u32_u24_sdwa v25, v15, s0 dst_sel:DWORD dst_unused:UNUSED_PAD src0_sel:WORD_0 src1_sel:DWORD
	v_lshrrev_b32_e32 v25, 19, v25
	v_mul_lo_u16_e32 v26, 0x4d, v25
	ds_read_u16 v107, v16
	ds_read_u16 v27, v16 offset:770
	ds_read_u16 v108, v16 offset:880
	;; [unrolled: 1-line block ×9, first 2 shown]
	v_sub_u16_e32 v26, v15, v26
	v_lshlrev_b32_e32 v28, 4, v26
	global_load_dwordx4 v[81:84], v28, s[8:9] offset:280
	v_add_u32_e32 v21, 0x113, v10
	ds_read_u16 v116, v16 offset:3080
	ds_read_u16 v117, v16 offset:2970
	ds_read_u16 v118, v22
	ds_read_u16 v119, v16 offset:3740
	v_add_u32_e32 v20, 0x14a, v10
	s_movk_i32 s4, 0x3b9c
	s_mov_b32 s7, 0xbb9c
	s_movk_i32 s5, 0x38b4
	s_mov_b32 s10, 0xb8b4
	s_movk_i32 s6, 0x34f2
	v_lshlrev_b32_e32 v0, 1, v0
	v_mul_u32_u24_e32 v1, 0x302, v1
	s_waitcnt vmcnt(4) lgkmcnt(12)
	v_mul_f16_sdwa v28, v27, v30 dst_sel:DWORD dst_unused:UNUSED_PAD src0_sel:DWORD src1_sel:WORD_1
	v_mul_f16_sdwa v85, v76, v30 dst_sel:DWORD dst_unused:UNUSED_PAD src0_sel:DWORD src1_sel:WORD_1
	;; [unrolled: 1-line block ×3, first 2 shown]
	v_fma_f16 v120, v76, v30, -v28
	v_fma_f16 v121, v27, v30, v85
	v_mul_f16_sdwa v30, v74, v31 dst_sel:DWORD dst_unused:UNUSED_PAD src0_sel:DWORD src1_sel:WORD_1
	v_fma_f16 v122, v74, v31, -v86
	v_mul_u32_u24_sdwa v27, v21, s0 dst_sel:DWORD dst_unused:UNUSED_PAD src0_sel:WORD_0 src1_sel:DWORD
	v_fma_f16 v31, v92, v31, v30
	s_waitcnt lgkmcnt(5)
	v_mul_f16_sdwa v30, v114, v32 dst_sel:DWORD dst_unused:UNUSED_PAD src0_sel:DWORD src1_sel:WORD_1
	v_lshrrev_b32_e32 v27, 19, v27
	v_fma_f16 v92, v75, v32, -v30
	v_mul_f16_sdwa v30, v75, v32 dst_sel:DWORD dst_unused:UNUSED_PAD src0_sel:DWORD src1_sel:WORD_1
	v_mul_lo_u16_e32 v28, 0x4d, v27
	v_fma_f16 v32, v114, v32, v30
	s_waitcnt lgkmcnt(3)
	v_mul_f16_sdwa v30, v116, v33 dst_sel:DWORD dst_unused:UNUSED_PAD src0_sel:DWORD src1_sel:WORD_1
	v_sub_u16_e32 v28, v21, v28
	v_fma_f16 v114, v73, v33, -v30
	v_mul_f16_sdwa v30, v73, v33 dst_sel:DWORD dst_unused:UNUSED_PAD src0_sel:DWORD src1_sel:WORD_1
	v_lshlrev_b32_e32 v74, 4, v28
	v_fma_f16 v33, v116, v33, v30
	v_mul_u32_u24_sdwa v30, v20, s0 dst_sel:DWORD dst_unused:UNUSED_PAD src0_sel:WORD_0 src1_sel:DWORD
	global_load_dwordx4 v[85:88], v74, s[8:9] offset:280
	v_lshrrev_b32_e32 v30, 19, v30
	v_mul_lo_u16_e32 v30, 0x4d, v30
	v_sub_u16_e32 v30, v20, v30
	v_lshlrev_b32_e32 v73, 4, v30
	global_load_dwordx4 v[73:76], v73, s[8:9] offset:280
	s_waitcnt vmcnt(5)
	v_mul_f16_sdwa v116, v108, v34 dst_sel:DWORD dst_unused:UNUSED_PAD src0_sel:DWORD src1_sel:WORD_1
	v_fma_f16 v116, v72, v34, -v116
	v_mul_f16_sdwa v72, v72, v34 dst_sel:DWORD dst_unused:UNUSED_PAD src0_sel:DWORD src1_sel:WORD_1
	v_fma_f16 v34, v108, v34, v72
	v_mul_f16_sdwa v72, v93, v35 dst_sel:DWORD dst_unused:UNUSED_PAD src0_sel:DWORD src1_sel:WORD_1
	v_fma_f16 v72, v69, v35, -v72
	v_mul_f16_sdwa v69, v69, v35 dst_sel:DWORD dst_unused:UNUSED_PAD src0_sel:DWORD src1_sel:WORD_1
	v_fma_f16 v35, v93, v35, v69
	;; [unrolled: 4-line block ×4, first 2 shown]
	s_waitcnt vmcnt(4)
	v_mul_f16_sdwa v42, v109, v38 dst_sel:DWORD dst_unused:UNUSED_PAD src0_sel:DWORD src1_sel:WORD_1
	v_mul_f16_sdwa v61, v71, v38 dst_sel:DWORD dst_unused:UNUSED_PAD src0_sel:DWORD src1_sel:WORD_1
	v_fma_f16 v42, v71, v38, -v42
	v_fma_f16 v38, v109, v38, v61
	v_mul_f16_sdwa v61, v94, v39 dst_sel:DWORD dst_unused:UNUSED_PAD src0_sel:DWORD src1_sel:WORD_1
	v_fma_f16 v61, v65, v39, -v61
	v_mul_f16_sdwa v65, v65, v39 dst_sel:DWORD dst_unused:UNUSED_PAD src0_sel:DWORD src1_sel:WORD_1
	v_fma_f16 v39, v94, v39, v65
	v_mul_f16_sdwa v65, v99, v40 dst_sel:DWORD dst_unused:UNUSED_PAD src0_sel:DWORD src1_sel:WORD_1
	v_fma_f16 v65, v66, v40, -v65
	v_mul_f16_sdwa v66, v66, v40 dst_sel:DWORD dst_unused:UNUSED_PAD src0_sel:DWORD src1_sel:WORD_1
	;; [unrolled: 4-line block ×3, first 2 shown]
	v_fma_f16 v41, v103, v41, v67
	s_waitcnt vmcnt(3)
	v_mul_f16_sdwa v67, v110, v77 dst_sel:DWORD dst_unused:UNUSED_PAD src0_sel:DWORD src1_sel:WORD_1
	v_fma_f16 v67, v68, v77, -v67
	v_mul_f16_sdwa v68, v68, v77 dst_sel:DWORD dst_unused:UNUSED_PAD src0_sel:DWORD src1_sel:WORD_1
	v_fma_f16 v68, v110, v77, v68
	v_mul_f16_sdwa v77, v100, v79 dst_sel:DWORD dst_unused:UNUSED_PAD src0_sel:DWORD src1_sel:WORD_1
	v_mul_f16_sdwa v71, v95, v78 dst_sel:DWORD dst_unused:UNUSED_PAD src0_sel:DWORD src1_sel:WORD_1
	v_fma_f16 v77, v62, v79, -v77
	v_mul_f16_sdwa v62, v62, v79 dst_sel:DWORD dst_unused:UNUSED_PAD src0_sel:DWORD src1_sel:WORD_1
	v_fma_f16 v71, v60, v78, -v71
	v_mul_f16_sdwa v60, v60, v78 dst_sel:DWORD dst_unused:UNUSED_PAD src0_sel:DWORD src1_sel:WORD_1
	v_fma_f16 v62, v100, v79, v62
	s_waitcnt vmcnt(2)
	v_mul_f16_sdwa v79, v111, v81 dst_sel:DWORD dst_unused:UNUSED_PAD src0_sel:DWORD src1_sel:WORD_1
	v_fma_f16 v60, v95, v78, v60
	v_mul_f16_sdwa v78, v104, v80 dst_sel:DWORD dst_unused:UNUSED_PAD src0_sel:DWORD src1_sel:WORD_1
	v_fma_f16 v79, v64, v81, -v79
	v_mul_f16_sdwa v64, v64, v81 dst_sel:DWORD dst_unused:UNUSED_PAD src0_sel:DWORD src1_sel:WORD_1
	v_fma_f16 v78, v63, v80, -v78
	v_mul_f16_sdwa v63, v63, v80 dst_sel:DWORD dst_unused:UNUSED_PAD src0_sel:DWORD src1_sel:WORD_1
	v_fma_f16 v64, v111, v81, v64
	v_mul_f16_sdwa v81, v101, v83 dst_sel:DWORD dst_unused:UNUSED_PAD src0_sel:DWORD src1_sel:WORD_1
	v_fma_f16 v63, v104, v80, v63
	v_mul_f16_sdwa v80, v96, v82 dst_sel:DWORD dst_unused:UNUSED_PAD src0_sel:DWORD src1_sel:WORD_1
	v_fma_f16 v81, v57, v83, -v81
	v_mul_f16_sdwa v57, v57, v83 dst_sel:DWORD dst_unused:UNUSED_PAD src0_sel:DWORD src1_sel:WORD_1
	v_fma_f16 v80, v56, v82, -v80
	v_mul_f16_sdwa v56, v56, v82 dst_sel:DWORD dst_unused:UNUSED_PAD src0_sel:DWORD src1_sel:WORD_1
	v_fma_f16 v57, v101, v83, v57
	v_fma_f16 v56, v96, v82, v56
	v_mul_f16_sdwa v82, v105, v84 dst_sel:DWORD dst_unused:UNUSED_PAD src0_sel:DWORD src1_sel:WORD_1
	v_fma_f16 v82, v58, v84, -v82
	v_mul_f16_sdwa v58, v58, v84 dst_sel:DWORD dst_unused:UNUSED_PAD src0_sel:DWORD src1_sel:WORD_1
	v_fma_f16 v58, v105, v84, v58
	v_sub_f16_e32 v93, v121, v33
	v_sub_f16_e32 v95, v31, v32
	;; [unrolled: 1-line block ×6, first 2 shown]
	v_add_f16_e32 v99, v99, v100
	v_sub_f16_e32 v101, v116, v72
	v_sub_f16_e32 v103, v69, v70
	;; [unrolled: 1-line block ×3, first 2 shown]
	s_waitcnt vmcnt(1)
	v_mul_f16_sdwa v83, v112, v85 dst_sel:DWORD dst_unused:UNUSED_PAD src0_sel:DWORD src1_sel:WORD_1
	v_fma_f16 v83, v59, v85, -v83
	v_mul_f16_sdwa v59, v59, v85 dst_sel:DWORD dst_unused:UNUSED_PAD src0_sel:DWORD src1_sel:WORD_1
	v_fma_f16 v59, v112, v85, v59
	v_mul_f16_sdwa v85, v102, v87 dst_sel:DWORD dst_unused:UNUSED_PAD src0_sel:DWORD src1_sel:WORD_1
	v_mul_f16_sdwa v84, v97, v86 dst_sel:DWORD dst_unused:UNUSED_PAD src0_sel:DWORD src1_sel:WORD_1
	v_fma_f16 v85, v50, v87, -v85
	v_mul_f16_sdwa v50, v50, v87 dst_sel:DWORD dst_unused:UNUSED_PAD src0_sel:DWORD src1_sel:WORD_1
	v_fma_f16 v84, v49, v86, -v84
	v_mul_f16_sdwa v49, v49, v86 dst_sel:DWORD dst_unused:UNUSED_PAD src0_sel:DWORD src1_sel:WORD_1
	v_fma_f16 v50, v102, v87, v50
	s_waitcnt vmcnt(0)
	v_mul_f16_sdwa v87, v113, v73 dst_sel:DWORD dst_unused:UNUSED_PAD src0_sel:DWORD src1_sel:WORD_1
	v_fma_f16 v49, v97, v86, v49
	v_mul_f16_sdwa v86, v106, v88 dst_sel:DWORD dst_unused:UNUSED_PAD src0_sel:DWORD src1_sel:WORD_1
	v_fma_f16 v87, v55, v73, -v87
	v_mul_f16_sdwa v55, v55, v73 dst_sel:DWORD dst_unused:UNUSED_PAD src0_sel:DWORD src1_sel:WORD_1
	v_fma_f16 v86, v51, v88, -v86
	v_mul_f16_sdwa v51, v51, v88 dst_sel:DWORD dst_unused:UNUSED_PAD src0_sel:DWORD src1_sel:WORD_1
	v_fma_f16 v55, v113, v73, v55
	v_mul_f16_sdwa v73, v115, v74 dst_sel:DWORD dst_unused:UNUSED_PAD src0_sel:DWORD src1_sel:WORD_1
	v_fma_f16 v51, v106, v88, v51
	v_fma_f16 v73, v54, v74, -v73
	v_mul_f16_sdwa v54, v54, v74 dst_sel:DWORD dst_unused:UNUSED_PAD src0_sel:DWORD src1_sel:WORD_1
	v_add_f16_e32 v88, v122, v92
	v_fma_f16 v54, v115, v74, v54
	s_waitcnt lgkmcnt(2)
	v_mul_f16_sdwa v74, v117, v75 dst_sel:DWORD dst_unused:UNUSED_PAD src0_sel:DWORD src1_sel:WORD_1
	v_fma_f16 v88, v88, -0.5, v48
	v_fma_f16 v74, v53, v75, -v74
	v_mul_f16_sdwa v53, v53, v75 dst_sel:DWORD dst_unused:UNUSED_PAD src0_sel:DWORD src1_sel:WORD_1
	v_fma_f16 v94, v93, s4, v88
	v_sub_f16_e32 v97, v114, v92
	v_fma_f16 v88, v93, s7, v88
	v_fma_f16 v53, v117, v75, v53
	s_waitcnt lgkmcnt(0)
	v_mul_f16_sdwa v75, v119, v76 dst_sel:DWORD dst_unused:UNUSED_PAD src0_sel:DWORD src1_sel:WORD_1
	v_fma_f16 v94, v95, s5, v94
	v_add_f16_e32 v96, v96, v97
	v_fma_f16 v88, v95, s10, v88
	v_fma_f16 v75, v52, v76, -v75
	v_mul_f16_sdwa v52, v52, v76 dst_sel:DWORD dst_unused:UNUSED_PAD src0_sel:DWORD src1_sel:WORD_1
	v_fma_f16 v94, v96, s6, v94
	v_fma_f16 v88, v96, s6, v88
	v_add_f16_e32 v96, v120, v114
	v_fma_f16 v52, v119, v76, v52
	v_add_f16_e32 v76, v48, v120
	v_fma_f16 v48, v96, -0.5, v48
	v_fma_f16 v96, v95, s7, v48
	v_sub_f16_e32 v97, v122, v120
	v_fma_f16 v48, v95, s4, v48
	v_fma_f16 v96, v93, s5, v96
	v_add_f16_e32 v97, v97, v98
	v_fma_f16 v48, v93, s10, v48
	v_add_f16_e32 v95, v31, v32
	v_add_f16_e32 v76, v76, v122
	v_fma_f16 v96, v97, s6, v96
	v_fma_f16 v48, v97, s6, v48
	v_fma_f16 v95, v95, -0.5, v107
	v_sub_f16_e32 v97, v120, v114
	v_add_f16_e32 v76, v76, v92
	v_fma_f16 v98, v97, s7, v95
	v_sub_f16_e32 v92, v122, v92
	v_fma_f16 v95, v97, s4, v95
	v_add_f16_e32 v93, v107, v121
	v_fma_f16 v98, v92, s10, v98
	v_fma_f16 v95, v92, s5, v95
	v_add_f16_e32 v93, v93, v31
	v_fma_f16 v98, v99, s6, v98
	v_fma_f16 v95, v99, s6, v95
	v_add_f16_e32 v99, v121, v33
	v_add_f16_e32 v93, v93, v32
	v_fma_f16 v99, v99, -0.5, v107
	v_sub_f16_e32 v31, v31, v121
	v_sub_f16_e32 v32, v32, v33
	v_add_f16_e32 v31, v31, v32
	v_fma_f16 v32, v92, s7, v99
	v_fma_f16 v32, v97, s5, v32
	;; [unrolled: 1-line block ×4, first 2 shown]
	v_add_f16_e32 v32, v72, v69
	v_add_f16_e32 v93, v93, v33
	v_fma_f16 v32, v32, -0.5, v47
	v_sub_f16_e32 v33, v34, v37
	v_fma_f16 v100, v97, s10, v100
	v_fma_f16 v97, v33, s4, v32
	v_sub_f16_e32 v99, v35, v36
	v_sub_f16_e32 v102, v70, v69
	v_fma_f16 v32, v33, s7, v32
	v_fma_f16 v97, v99, s5, v97
	v_add_f16_e32 v101, v101, v102
	v_fma_f16 v32, v99, s10, v32
	v_fma_f16 v97, v101, s6, v97
	;; [unrolled: 1-line block ×3, first 2 shown]
	v_add_f16_e32 v101, v116, v70
	v_fma_f16 v100, v31, s6, v100
	v_add_f16_e32 v31, v47, v116
	v_fma_f16 v47, v101, -0.5, v47
	v_fma_f16 v101, v99, s7, v47
	v_fma_f16 v47, v99, s4, v47
	;; [unrolled: 1-line block ×4, first 2 shown]
	v_add_f16_e32 v47, v89, v34
	v_add_f16_e32 v47, v47, v35
	;; [unrolled: 1-line block ×5, first 2 shown]
	v_sub_f16_e32 v102, v72, v116
	v_add_f16_e32 v99, v47, v37
	v_add_f16_e32 v47, v35, v36
	;; [unrolled: 1-line block ×4, first 2 shown]
	v_fma_f16 v47, v47, -0.5, v89
	v_sub_f16_e32 v70, v116, v70
	v_fma_f16 v101, v102, s6, v101
	v_fma_f16 v33, v102, s6, v33
	;; [unrolled: 1-line block ×3, first 2 shown]
	v_sub_f16_e32 v69, v72, v69
	v_fma_f16 v72, v69, s10, v102
	v_sub_f16_e32 v102, v34, v35
	v_sub_f16_e32 v103, v37, v36
	v_fma_f16 v47, v70, s4, v47
	v_add_f16_e32 v102, v102, v103
	v_fma_f16 v47, v69, s5, v47
	v_fma_f16 v72, v102, s6, v72
	;; [unrolled: 1-line block ×3, first 2 shown]
	v_add_f16_e32 v47, v34, v37
	v_fma_f16 v47, v47, -0.5, v89
	v_sub_f16_e32 v34, v35, v34
	v_sub_f16_e32 v35, v36, v37
	v_add_f16_e32 v34, v34, v35
	v_fma_f16 v35, v69, s7, v47
	v_fma_f16 v35, v70, s5, v35
	;; [unrolled: 1-line block ×4, first 2 shown]
	v_add_f16_e32 v35, v61, v65
	v_fma_f16 v35, v35, -0.5, v46
	v_sub_f16_e32 v36, v38, v41
	v_fma_f16 v89, v70, s10, v89
	v_fma_f16 v37, v36, s4, v35
	v_sub_f16_e32 v47, v39, v40
	v_sub_f16_e32 v70, v42, v61
	;; [unrolled: 1-line block ×3, first 2 shown]
	v_fma_f16 v35, v36, s7, v35
	v_fma_f16 v37, v47, s5, v37
	v_add_f16_e32 v70, v70, v103
	v_fma_f16 v35, v47, s10, v35
	v_fma_f16 v37, v70, s6, v37
	;; [unrolled: 1-line block ×3, first 2 shown]
	v_add_f16_e32 v70, v42, v66
	v_fma_f16 v89, v34, s6, v89
	v_add_f16_e32 v34, v46, v42
	v_fma_f16 v46, v70, -0.5, v46
	v_fma_f16 v70, v47, s7, v46
	v_fma_f16 v46, v47, s4, v46
	;; [unrolled: 1-line block ×4, first 2 shown]
	v_add_f16_e32 v46, v90, v38
	v_sub_f16_e32 v103, v61, v42
	v_add_f16_e32 v46, v46, v39
	v_add_f16_e32 v103, v103, v104
	;; [unrolled: 1-line block ×4, first 2 shown]
	v_fma_f16 v70, v103, s6, v70
	v_fma_f16 v36, v103, s6, v36
	v_add_f16_e32 v103, v46, v41
	v_add_f16_e32 v46, v39, v40
	;; [unrolled: 1-line block ×3, first 2 shown]
	v_fma_f16 v46, v46, -0.5, v90
	v_sub_f16_e32 v42, v42, v66
	v_add_f16_e32 v34, v34, v66
	v_fma_f16 v47, v42, s7, v46
	v_sub_f16_e32 v61, v61, v65
	v_sub_f16_e32 v65, v38, v39
	;; [unrolled: 1-line block ×3, first 2 shown]
	v_fma_f16 v46, v42, s4, v46
	v_fma_f16 v47, v61, s10, v47
	v_add_f16_e32 v65, v65, v66
	v_fma_f16 v46, v61, s5, v46
	v_fma_f16 v66, v65, s6, v47
	;; [unrolled: 1-line block ×3, first 2 shown]
	v_add_f16_e32 v46, v38, v41
	v_fma_f16 v46, v46, -0.5, v90
	v_sub_f16_e32 v38, v39, v38
	v_sub_f16_e32 v39, v40, v41
	v_add_f16_e32 v38, v38, v39
	v_fma_f16 v39, v61, s7, v46
	v_fma_f16 v39, v42, s5, v39
	;; [unrolled: 1-line block ×4, first 2 shown]
	v_add_f16_e32 v39, v71, v77
	v_fma_f16 v47, v42, s10, v47
	v_fma_f16 v39, v39, -0.5, v45
	v_sub_f16_e32 v40, v68, v63
	v_fma_f16 v90, v38, s6, v47
	v_fma_f16 v41, v40, s4, v39
	v_sub_f16_e32 v42, v60, v62
	v_sub_f16_e32 v46, v67, v71
	;; [unrolled: 1-line block ×3, first 2 shown]
	v_fma_f16 v39, v40, s7, v39
	v_fma_f16 v41, v42, s5, v41
	v_add_f16_e32 v46, v46, v47
	v_fma_f16 v39, v42, s10, v39
	v_fma_f16 v41, v46, s6, v41
	;; [unrolled: 1-line block ×3, first 2 shown]
	v_add_f16_e32 v46, v67, v78
	v_add_f16_e32 v38, v45, v67
	v_fma_f16 v45, v46, -0.5, v45
	v_fma_f16 v46, v42, s7, v45
	v_fma_f16 v42, v42, s4, v45
	v_fma_f16 v46, v40, s5, v46
	v_fma_f16 v40, v40, s10, v42
	v_add_f16_e32 v42, v91, v68
	v_add_f16_e32 v42, v42, v60
	v_add_f16_e32 v42, v42, v62
	v_sub_f16_e32 v47, v71, v67
	v_sub_f16_e32 v61, v77, v78
	v_add_f16_e32 v105, v42, v63
	v_add_f16_e32 v42, v60, v62
	;; [unrolled: 1-line block ×3, first 2 shown]
	v_fma_f16 v42, v42, -0.5, v91
	v_sub_f16_e32 v45, v67, v78
	v_add_f16_e32 v38, v38, v71
	v_fma_f16 v46, v47, s6, v46
	v_fma_f16 v40, v47, s6, v40
	;; [unrolled: 1-line block ×3, first 2 shown]
	v_sub_f16_e32 v61, v71, v77
	v_sub_f16_e32 v67, v68, v60
	;; [unrolled: 1-line block ×3, first 2 shown]
	v_fma_f16 v42, v45, s4, v42
	v_fma_f16 v47, v61, s10, v47
	v_add_f16_e32 v67, v67, v71
	v_fma_f16 v42, v61, s5, v42
	v_fma_f16 v71, v67, s6, v47
	;; [unrolled: 1-line block ×3, first 2 shown]
	v_add_f16_e32 v42, v68, v63
	v_fma_f16 v42, v42, -0.5, v91
	v_fma_f16 v47, v61, s4, v42
	v_sub_f16_e32 v60, v60, v68
	v_sub_f16_e32 v62, v62, v63
	v_fma_f16 v42, v61, s7, v42
	v_fma_f16 v47, v45, s10, v47
	v_add_f16_e32 v60, v60, v62
	v_fma_f16 v42, v45, s5, v42
	v_add_f16_e32 v45, v80, v81
	v_fma_f16 v63, v60, s6, v47
	v_fma_f16 v45, v45, -0.5, v44
	v_sub_f16_e32 v47, v64, v58
	v_add_f16_e32 v38, v38, v77
	v_fma_f16 v68, v60, s6, v42
	v_fma_f16 v60, v47, s4, v45
	v_sub_f16_e32 v61, v56, v57
	v_sub_f16_e32 v62, v79, v80
	;; [unrolled: 1-line block ×3, first 2 shown]
	v_fma_f16 v45, v47, s7, v45
	v_fma_f16 v60, v61, s5, v60
	v_add_f16_e32 v62, v62, v77
	v_fma_f16 v45, v61, s10, v45
	v_fma_f16 v60, v62, s6, v60
	;; [unrolled: 1-line block ×3, first 2 shown]
	v_add_f16_e32 v62, v79, v82
	v_add_f16_e32 v42, v44, v79
	v_fma_f16 v44, v62, -0.5, v44
	v_fma_f16 v62, v61, s7, v44
	v_fma_f16 v44, v61, s4, v44
	;; [unrolled: 1-line block ×4, first 2 shown]
	v_add_f16_e32 v47, v118, v64
	v_add_f16_e32 v38, v38, v78
	v_sub_f16_e32 v77, v80, v79
	v_sub_f16_e32 v78, v81, v82
	v_add_f16_e32 v47, v47, v56
	v_add_f16_e32 v77, v77, v78
	;; [unrolled: 1-line block ×3, first 2 shown]
	v_fma_f16 v62, v77, s6, v62
	v_fma_f16 v44, v77, s6, v44
	v_add_f16_e32 v77, v47, v58
	v_add_f16_e32 v47, v56, v57
	;; [unrolled: 1-line block ×3, first 2 shown]
	v_fma_f16 v47, v47, -0.5, v118
	v_sub_f16_e32 v61, v79, v82
	v_add_f16_e32 v42, v42, v81
	v_fma_f16 v78, v61, s7, v47
	v_sub_f16_e32 v79, v80, v81
	v_sub_f16_e32 v80, v64, v56
	;; [unrolled: 1-line block ×3, first 2 shown]
	v_fma_f16 v47, v61, s4, v47
	v_fma_f16 v78, v79, s10, v78
	v_add_f16_e32 v80, v80, v81
	v_fma_f16 v47, v79, s5, v47
	v_fma_f16 v78, v80, s6, v78
	;; [unrolled: 1-line block ×3, first 2 shown]
	v_add_f16_e32 v47, v64, v58
	v_fma_f16 v47, v47, -0.5, v118
	v_sub_f16_e32 v56, v56, v64
	v_sub_f16_e32 v57, v57, v58
	v_fma_f16 v81, v79, s4, v47
	v_add_f16_e32 v56, v56, v57
	v_add_f16_e32 v57, v84, v85
	v_fma_f16 v81, v61, s10, v81
	v_fma_f16 v47, v79, s7, v47
	v_fma_f16 v57, v57, -0.5, v43
	v_sub_f16_e32 v58, v59, v51
	v_add_f16_e32 v42, v42, v82
	v_fma_f16 v64, v56, s6, v81
	v_fma_f16 v47, v61, s5, v47
	;; [unrolled: 1-line block ×3, first 2 shown]
	v_sub_f16_e32 v79, v49, v50
	v_sub_f16_e32 v81, v83, v84
	v_sub_f16_e32 v82, v86, v85
	v_fma_f16 v57, v58, s7, v57
	v_fma_f16 v61, v79, s5, v61
	v_add_f16_e32 v81, v81, v82
	v_fma_f16 v57, v79, s10, v57
	v_fma_f16 v61, v81, s6, v61
	;; [unrolled: 1-line block ×3, first 2 shown]
	v_add_f16_e32 v81, v83, v86
	v_fma_f16 v56, v56, s6, v47
	v_add_f16_e32 v47, v43, v83
	v_fma_f16 v43, v81, -0.5, v43
	v_fma_f16 v81, v79, s7, v43
	v_fma_f16 v43, v79, s4, v43
	;; [unrolled: 1-line block ×4, first 2 shown]
	v_add_f16_e32 v58, v29, v59
	v_add_f16_e32 v58, v58, v49
	v_sub_f16_e32 v82, v84, v83
	v_sub_f16_e32 v91, v85, v86
	v_add_f16_e32 v58, v58, v50
	v_add_f16_e32 v47, v47, v84
	;; [unrolled: 1-line block ×6, first 2 shown]
	v_fma_f16 v81, v82, s6, v81
	v_fma_f16 v43, v82, s6, v43
	v_fma_f16 v58, v58, -0.5, v29
	v_sub_f16_e32 v82, v83, v86
	v_add_f16_e32 v47, v47, v86
	v_fma_f16 v83, v82, s7, v58
	v_sub_f16_e32 v84, v84, v85
	v_sub_f16_e32 v85, v59, v49
	;; [unrolled: 1-line block ×3, first 2 shown]
	v_fma_f16 v58, v82, s4, v58
	v_fma_f16 v83, v84, s10, v83
	v_add_f16_e32 v85, v85, v86
	v_fma_f16 v58, v84, s5, v58
	v_fma_f16 v83, v85, s6, v83
	;; [unrolled: 1-line block ×3, first 2 shown]
	v_add_f16_e32 v58, v59, v51
	v_fma_f16 v29, v58, -0.5, v29
	v_fma_f16 v58, v84, s4, v29
	v_sub_f16_e32 v49, v49, v59
	v_sub_f16_e32 v50, v50, v51
	v_fma_f16 v29, v84, s7, v29
	v_fma_f16 v58, v82, s10, v58
	v_add_f16_e32 v49, v49, v50
	v_fma_f16 v29, v82, s5, v29
	v_fma_f16 v50, v49, s6, v58
	;; [unrolled: 1-line block ×3, first 2 shown]
	v_add_f16_e32 v49, v73, v74
	v_fma_f16 v49, v49, -0.5, v3
	v_sub_f16_e32 v58, v55, v52
	v_fma_f16 v59, v58, s4, v49
	v_sub_f16_e32 v82, v54, v53
	v_sub_f16_e32 v84, v87, v73
	;; [unrolled: 1-line block ×3, first 2 shown]
	v_fma_f16 v49, v58, s7, v49
	v_fma_f16 v59, v82, s5, v59
	v_add_f16_e32 v84, v84, v86
	v_fma_f16 v49, v82, s10, v49
	v_fma_f16 v59, v84, s6, v59
	;; [unrolled: 1-line block ×3, first 2 shown]
	v_add_f16_e32 v84, v87, v75
	v_add_f16_e32 v29, v3, v87
	v_fma_f16 v3, v84, -0.5, v3
	v_fma_f16 v84, v82, s7, v3
	v_fma_f16 v3, v82, s4, v3
	;; [unrolled: 1-line block ×4, first 2 shown]
	v_add_f16_e32 v58, v24, v55
	v_add_f16_e32 v58, v58, v54
	;; [unrolled: 1-line block ×5, first 2 shown]
	v_sub_f16_e32 v86, v73, v87
	v_sub_f16_e32 v91, v74, v75
	v_add_f16_e32 v82, v58, v52
	v_add_f16_e32 v58, v54, v53
	;; [unrolled: 1-line block ×4, first 2 shown]
	v_fma_f16 v58, v58, -0.5, v24
	v_sub_f16_e32 v75, v87, v75
	v_fma_f16 v84, v86, s6, v84
	v_fma_f16 v3, v86, s6, v3
	;; [unrolled: 1-line block ×3, first 2 shown]
	v_sub_f16_e32 v73, v73, v74
	v_fma_f16 v74, v73, s10, v86
	v_sub_f16_e32 v86, v55, v54
	v_sub_f16_e32 v87, v52, v53
	v_fma_f16 v58, v75, s4, v58
	v_add_f16_e32 v86, v86, v87
	v_fma_f16 v58, v73, s5, v58
	v_fma_f16 v74, v86, s6, v74
	;; [unrolled: 1-line block ×3, first 2 shown]
	v_add_f16_e32 v58, v55, v52
	v_fma_f16 v24, v58, -0.5, v24
	v_fma_f16 v58, v73, s4, v24
	v_sub_f16_e32 v54, v54, v55
	v_sub_f16_e32 v52, v53, v52
	v_fma_f16 v24, v73, s7, v24
	v_add_f16_e32 v52, v54, v52
	v_fma_f16 v24, v75, s5, v24
	v_fma_f16 v73, v52, s6, v24
	v_mov_b32_e32 v24, 0x302
	v_cmp_lt_u32_e64 s[0:1], 21, v10
	v_cndmask_b32_e64 v24, 0, v24, s[0:1]
	v_add3_u32 v0, 0, v24, v0
	v_mov_b32_e32 v24, 1
	v_lshlrev_b32_sdwa v2, v24, v2 dst_sel:DWORD dst_unused:UNUSED_PAD src0_sel:DWORD src1_sel:BYTE_0
	v_add3_u32 v1, 0, v1, v2
	v_lshl_add_u32 v2, v8, 1, 0
	v_mul_u32_u24_e32 v8, 0x302, v25
	v_lshlrev_b32_e32 v24, 1, v26
	v_add_f16_e32 v76, v76, v114
	v_add3_u32 v8, 0, v8, v24
	v_mul_u32_u24_e32 v24, 0x302, v27
	v_lshlrev_b32_e32 v25, 1, v28
	v_fma_f16 v58, v75, s10, v58
	s_waitcnt lgkmcnt(0)
	; wave barrier
	ds_write_b16 v16, v76
	ds_write_b16 v16, v94 offset:154
	ds_write_b16 v16, v96 offset:308
	ds_write_b16 v16, v48 offset:462
	ds_write_b16 v16, v88 offset:616
	ds_write_b16 v0, v31
	ds_write_b16 v0, v97 offset:154
	ds_write_b16 v0, v101 offset:308
	ds_write_b16 v0, v33 offset:462
	ds_write_b16 v0, v32 offset:616
	;; [unrolled: 5-line block ×3, first 2 shown]
	v_add3_u32 v70, 0, v24, v25
	v_lshl_add_u32 v75, v30, 1, 0
	v_fma_f16 v54, v52, s6, v58
	ds_write_b16 v2, v38 offset:1540
	ds_write_b16 v2, v41 offset:1694
	;; [unrolled: 1-line block ×5, first 2 shown]
	ds_write_b16 v8, v42
	ds_write_b16 v8, v60 offset:154
	ds_write_b16 v8, v62 offset:308
	;; [unrolled: 1-line block ×4, first 2 shown]
	ds_write_b16 v70, v47
	ds_write_b16 v70, v61 offset:154
	ds_write_b16 v70, v81 offset:308
	;; [unrolled: 1-line block ×9, first 2 shown]
	s_waitcnt lgkmcnt(0)
	; wave barrier
	s_waitcnt lgkmcnt(0)
	ds_read_u16 v30, v16 offset:3190
	ds_read_u16 v29, v17
	ds_read_u16 v37, v18
	;; [unrolled: 1-line block ×3, first 2 shown]
	ds_read_u16 v25, v16 offset:1540
	ds_read_u16 v33, v16 offset:1650
	;; [unrolled: 1-line block ×17, first 2 shown]
	ds_read_u16 v24, v16
	ds_read_u16 v26, v16 offset:770
	ds_read_u16 v38, v16 offset:880
	;; [unrolled: 1-line block ×11, first 2 shown]
	ds_read_u16 v58, v22
	ds_read_u16 v48, v16 offset:3740
	s_waitcnt lgkmcnt(0)
	; wave barrier
	s_waitcnt lgkmcnt(0)
	ds_write_b16 v16, v93
	ds_write_b16 v16, v98 offset:154
	ds_write_b16 v16, v100 offset:308
	ds_write_b16 v16, v92 offset:462
	ds_write_b16 v16, v95 offset:616
	ds_write_b16 v0, v99
	ds_write_b16 v0, v72 offset:154
	ds_write_b16 v0, v89 offset:308
	ds_write_b16 v0, v69 offset:462
	ds_write_b16 v0, v102 offset:616
	;; [unrolled: 5-line block ×3, first 2 shown]
	ds_write_b16 v2, v105 offset:1540
	ds_write_b16 v2, v71 offset:1694
	;; [unrolled: 1-line block ×5, first 2 shown]
	ds_write_b16 v8, v77
	ds_write_b16 v8, v78 offset:154
	ds_write_b16 v8, v64 offset:308
	;; [unrolled: 1-line block ×4, first 2 shown]
	ds_write_b16 v70, v79
	ds_write_b16 v70, v83 offset:154
	ds_write_b16 v70, v50 offset:308
	;; [unrolled: 1-line block ×9, first 2 shown]
	s_waitcnt lgkmcnt(0)
	; wave barrier
	s_waitcnt lgkmcnt(0)
	s_and_saveexec_b64 s[0:1], vcc
	s_cbranch_execz .LBB0_23
; %bb.22:
	v_lshlrev_b32_e32 v8, 2, v20
	v_lshlrev_b64 v[0:1], 2, v[8:9]
	v_mov_b32_e32 v56, s9
	v_add_co_u32_e32 v0, vcc, s8, v0
	v_addc_co_u32_e32 v1, vcc, v56, v1, vcc
	global_load_dwordx4 v[0:3], v[0:1], off offset:1512
	v_lshlrev_b32_e32 v8, 2, v21
	ds_read_u16 v70, v16 offset:2310
	ds_read_u16 v50, v16 offset:2200
	;; [unrolled: 1-line block ×5, first 2 shown]
	ds_read_u16 v68, v22
	ds_read_u16 v69, v16 offset:3740
	ds_read_u16 v76, v16 offset:3630
	;; [unrolled: 1-line block ×4, first 2 shown]
	v_lshlrev_b64 v[22:23], 2, v[8:9]
	v_add_co_u32_e32 v22, vcc, s8, v22
	v_addc_co_u32_e32 v23, vcc, v56, v23, vcc
	global_load_dwordx4 v[63:66], v[22:23], off offset:1512
	ds_read_u16 v8, v16 offset:2970
	ds_read_u16 v77, v16 offset:2860
	;; [unrolled: 1-line block ×3, first 2 shown]
	ds_read_u16 v18, v18
	ds_read_u16 v78, v16 offset:1320
	ds_read_u16 v17, v17
	s_waitcnt vmcnt(1)
	v_lshrrev_b32_e32 v22, 16, v0
	v_lshrrev_b32_e32 v72, 16, v1
	;; [unrolled: 1-line block ×4, first 2 shown]
	s_waitcnt lgkmcnt(3)
	v_mul_f16_e32 v75, v0, v23
	v_mul_f16_e32 v79, v1, v50
	;; [unrolled: 1-line block ×4, first 2 shown]
	v_fma_f16 v75, v32, v22, v75
	v_fma_f16 v79, v34, v72, v79
	;; [unrolled: 1-line block ×4, first 2 shown]
	v_mul_f16_e32 v50, v72, v50
	v_mul_f16_e32 v8, v73, v8
	;; [unrolled: 1-line block ×4, first 2 shown]
	v_fma_f16 v50, v34, v1, -v50
	v_fma_f16 v8, v35, v2, -v8
	;; [unrolled: 1-line block ×4, first 2 shown]
	v_add_f16_e32 v0, v79, v82
	v_sub_f16_e32 v1, v79, v75
	v_sub_f16_e32 v2, v82, v81
	v_add_f16_e32 v3, v75, v81
	v_sub_f16_e32 v69, v75, v79
	v_sub_f16_e32 v48, v75, v81
	v_add_f16_e32 v34, v75, v51
	v_fma_f16 v75, v0, -0.5, v51
	v_add_f16_e32 v23, v50, v8
	v_add_f16_e32 v1, v1, v2
	v_fma_f16 v2, v3, -0.5, v51
	v_sub_f16_e32 v3, v50, v32
	v_sub_f16_e32 v51, v8, v35
	v_add_f16_e32 v83, v32, v35
	v_fma_f16 v86, v23, -0.5, v31
	v_add_f16_e32 v23, v3, v51
	v_fma_f16 v3, v83, -0.5, v31
	v_add_f16_e32 v31, v31, v32
	v_sub_f16_e32 v72, v81, v82
	v_add_f16_e32 v31, v31, v50
	v_add_f16_e32 v69, v69, v72
	v_sub_f16_e32 v72, v50, v8
	v_sub_f16_e32 v74, v32, v35
	v_sub_f16_e32 v22, v35, v8
	v_add_f16_e32 v8, v31, v8
	v_add_f16_e32 v35, v35, v8
	v_fma_f16 v8, v74, s7, v75
	v_sub_f16_e32 v0, v32, v50
	v_fma_f16 v8, v72, s10, v8
	v_sub_f16_e32 v73, v79, v82
	v_fma_f16 v84, v74, s4, v75
	v_add_f16_e32 v85, v0, v22
	v_fma_f16 v0, v72, s7, v2
	v_fma_f16 v31, v69, s6, v8
	;; [unrolled: 1-line block ×8, first 2 shown]
	v_add_f16_e32 v34, v79, v34
	v_fma_f16 v8, v73, s5, v8
	v_fma_f16 v51, v48, s7, v86
	;; [unrolled: 1-line block ×6, first 2 shown]
	v_add_f16_e32 v34, v82, v34
	v_fma_f16 v32, v85, s6, v8
	s_waitcnt vmcnt(0)
	v_lshrrev_b32_e32 v48, 16, v63
	ds_read_u16 v82, v16 offset:1210
	s_waitcnt lgkmcnt(2)
	v_mul_f16_e32 v8, v63, v78
	v_fma_f16 v51, v73, s10, v51
	v_fma_f16 v3, v23, s6, v83
	;; [unrolled: 1-line block ×3, first 2 shown]
	v_lshlrev_b32_e32 v8, 2, v15
	v_fma_f16 v0, v69, s6, v22
	v_fma_f16 v22, v1, s6, v87
	v_fma_f16 v1, v85, s6, v51
	v_lshlrev_b64 v[50:51], 2, v[8:9]
	v_add_f16_e32 v34, v81, v34
	v_add_co_u32_e32 v50, vcc, s8, v50
	v_addc_co_u32_e32 v51, vcc, v56, v51, vcc
	v_lshrrev_b32_e32 v81, 16, v66
	global_load_dwordx4 v[72:75], v[50:51], off offset:1512
	v_mul_f16_e32 v50, v66, v76
	v_lshrrev_b32_e32 v69, 16, v64
	v_lshrrev_b32_e32 v79, 16, v65
	v_mul_f16_e32 v8, v64, v54
	v_fma_f16 v86, v44, v81, v50
	v_mul_f16_e32 v50, v65, v77
	v_fma_f16 v8, v39, v69, v8
	v_fma_f16 v88, v45, v79, v50
	v_sub_f16_e32 v15, v83, v8
	v_sub_f16_e32 v50, v86, v88
	v_add_f16_e32 v50, v15, v50
	v_mul_f16_e32 v15, v69, v54
	v_fma_f16 v64, v39, v64, -v15
	v_mul_f16_e32 v15, v79, v77
	v_fma_f16 v65, v45, v65, -v15
	;; [unrolled: 2-line block ×4, first 2 shown]
	v_sub_f16_e32 v39, v63, v64
	v_sub_f16_e32 v44, v66, v65
	v_add_f16_e32 v76, v39, v44
	v_sub_f16_e32 v44, v8, v83
	v_sub_f16_e32 v45, v88, v86
	v_add_f16_e32 v47, v44, v45
	v_add_f16_e32 v44, v83, v86
	v_sub_f16_e32 v51, v64, v65
	v_add_f16_e32 v15, v8, v88
	v_fma_f16 v48, v44, -0.5, v67
	v_sub_f16_e32 v54, v63, v66
	v_fma_f16 v69, v15, -0.5, v67
	v_fma_f16 v44, v51, s7, v48
	v_fma_f16 v48, v51, s4, v48
	;; [unrolled: 1-line block ×6, first 2 shown]
	ds_read_u16 v69, v16 offset:1100
	v_fma_f16 v15, v51, s5, v15
	v_fma_f16 v51, v51, s10, v54
	v_add_f16_e32 v54, v83, v67
	v_sub_f16_e32 v79, v8, v88
	v_add_f16_e32 v8, v8, v54
	v_add_f16_e32 v8, v88, v8
	;; [unrolled: 1-line block ×4, first 2 shown]
	v_sub_f16_e32 v45, v64, v63
	v_sub_f16_e32 v81, v65, v66
	v_add_f16_e32 v8, v8, v64
	v_add_f16_e32 v39, v64, v65
	;; [unrolled: 1-line block ×5, first 2 shown]
	v_fma_f16 v77, v39, -0.5, v55
	v_fma_f16 v89, v45, -0.5, v55
	v_add_f16_e32 v55, v66, v8
	v_lshlrev_b32_e32 v8, 2, v13
	v_lshlrev_b64 v[63:64], 2, v[8:9]
	v_sub_f16_e32 v78, v83, v86
	v_fma_f16 v15, v50, s6, v15
	v_fma_f16 v39, v78, s7, v77
	;; [unrolled: 1-line block ×4, first 2 shown]
	v_add_co_u32_e32 v63, vcc, s8, v63
	v_fma_f16 v39, v79, s10, v39
	v_fma_f16 v44, v47, s6, v44
	;; [unrolled: 1-line block ×6, first 2 shown]
	v_addc_co_u32_e32 v64, vcc, v56, v64, vcc
	v_fma_f16 v39, v76, s6, v39
	v_fma_f16 v45, v78, s10, v45
	;; [unrolled: 1-line block ×4, first 2 shown]
	global_load_dwordx4 v[76:79], v[63:64], off offset:1512
	v_fma_f16 v23, v23, s6, v84
	ds_read_u16 v84, v16 offset:1980
	ds_read_u16 v87, v16 offset:2750
	;; [unrolled: 1-line block ×4, first 2 shown]
	s_waitcnt vmcnt(1)
	v_lshrrev_b32_e32 v8, 16, v72
	s_waitcnt lgkmcnt(5)
	v_mul_f16_e32 v65, v72, v82
	v_fma_f16 v45, v81, s6, v45
	v_fma_f16 v48, v81, s6, v48
	v_lshrrev_b32_e32 v13, 16, v73
	v_fma_f16 v66, v62, v8, v65
	ds_read_u16 v88, v16 offset:2640
	ds_read_u16 v81, v16 offset:1870
	s_waitcnt lgkmcnt(5)
	v_mul_f16_e32 v65, v73, v84
	v_lshrrev_b32_e32 v63, 16, v74
	v_fma_f16 v67, v59, v13, v65
	v_mul_f16_e32 v13, v13, v84
	v_lshrrev_b32_e32 v64, 16, v75
	v_fma_f16 v73, v59, v73, -v13
	s_waitcnt lgkmcnt(4)
	v_mul_f16_e32 v13, v63, v87
	v_mul_f16_e32 v89, v74, v87
	v_fma_f16 v74, v61, v74, -v13
	v_mul_f16_e32 v8, v8, v82
	s_waitcnt lgkmcnt(2)
	v_mul_f16_e32 v13, v64, v85
	v_mul_f16_e32 v86, v75, v85
	v_fma_f16 v8, v62, v72, -v8
	v_fma_f16 v72, v60, v75, -v13
	v_fma_f16 v86, v60, v64, v86
	v_fma_f16 v89, v61, v63, v89
	v_sub_f16_e32 v59, v8, v73
	v_sub_f16_e32 v60, v72, v74
	v_add_f16_e32 v82, v59, v60
	v_sub_f16_e32 v60, v67, v66
	v_sub_f16_e32 v61, v89, v86
	v_add_f16_e32 v62, v60, v61
	v_add_f16_e32 v60, v66, v86
	v_sub_f16_e32 v84, v73, v74
	v_add_f16_e32 v13, v67, v89
	v_fma_f16 v63, v60, -0.5, v68
	v_sub_f16_e32 v61, v73, v8
	v_sub_f16_e32 v91, v74, v72
	;; [unrolled: 1-line block ×5, first 2 shown]
	v_fma_f16 v75, v13, -0.5, v68
	v_fma_f16 v60, v84, s7, v63
	v_add_f16_e32 v91, v61, v91
	v_add_f16_e32 v61, v8, v72
	v_fma_f16 v63, v84, s4, v63
	v_add_f16_e32 v8, v58, v8
	v_add_f16_e32 v65, v65, v90
	v_fma_f16 v13, v64, s4, v75
	v_add_f16_e32 v59, v73, v74
	v_sub_f16_e32 v90, v67, v89
	v_fma_f16 v60, v64, s5, v60
	v_fma_f16 v92, v61, -0.5, v58
	v_fma_f16 v63, v64, s10, v63
	v_fma_f16 v64, v64, s7, v75
	v_add_f16_e32 v8, v8, v73
	v_fma_f16 v13, v84, s5, v13
	v_fma_f16 v85, v59, -0.5, v58
	v_sub_f16_e32 v87, v66, v86
	v_fma_f16 v60, v62, s6, v60
	v_fma_f16 v61, v90, s4, v92
	;; [unrolled: 1-line block ×5, first 2 shown]
	v_add_f16_e32 v66, v66, v68
	v_add_f16_e32 v8, v8, v74
	v_fma_f16 v13, v65, s6, v13
	v_fma_f16 v59, v87, s7, v85
	;; [unrolled: 1-line block ×6, first 2 shown]
	ds_read_u16 v87, v16 offset:1760
	v_add_f16_e32 v66, v67, v66
	v_add_f16_e32 v58, v72, v8
	;; [unrolled: 1-line block ×3, first 2 shown]
	s_waitcnt vmcnt(0)
	v_lshrrev_b32_e32 v84, 16, v77
	s_waitcnt lgkmcnt(1)
	v_mul_f16_e32 v8, v77, v81
	v_fma_f16 v89, v49, v84, v8
	v_lshlrev_b32_e32 v8, 2, v12
	v_lshlrev_b64 v[67:68], 2, v[8:9]
	v_fma_f16 v59, v90, s10, v59
	v_add_co_u32_e32 v67, vcc, s8, v67
	v_addc_co_u32_e32 v68, vcc, v56, v68, vcc
	global_load_dwordx4 v[72:75], v[67:68], off offset:1512
	v_fma_f16 v65, v90, s5, v65
	v_lshrrev_b32_e32 v85, 16, v78
	v_mul_f16_e32 v67, v78, v88
	v_fma_f16 v59, v82, s6, v59
	v_fma_f16 v61, v91, s6, v61
	;; [unrolled: 1-line block ×4, first 2 shown]
	v_add_f16_e32 v66, v86, v66
	v_lshrrev_b32_e32 v82, 16, v76
	v_lshrrev_b32_e32 v86, 16, v79
	ds_read_u16 v90, v16 offset:990
	v_mul_f16_e32 v91, v76, v69
	v_fma_f16 v68, v52, v85, v67
	v_mul_f16_e32 v67, v79, v83
	v_fma_f16 v8, v57, v82, v91
	v_fma_f16 v93, v53, v86, v67
	v_sub_f16_e32 v12, v89, v8
	v_sub_f16_e32 v67, v68, v93
	ds_read_u16 v91, v16 offset:2530
	ds_read_u16 v92, v16 offset:3300
	v_add_f16_e32 v94, v12, v67
	v_mul_f16_e32 v12, v82, v69
	ds_read_u16 v69, v19
	v_fma_f16 v57, v57, v76, -v12
	v_mul_f16_e32 v12, v86, v83
	v_fma_f16 v76, v53, v79, -v12
	v_add_f16_e32 v12, v8, v93
	s_waitcnt lgkmcnt(0)
	v_fma_f16 v82, v12, -0.5, v69
	v_mul_f16_e32 v12, v84, v81
	v_fma_f16 v49, v49, v77, -v12
	v_mul_f16_e32 v12, v85, v88
	v_fma_f16 v52, v52, v78, -v12
	v_sub_f16_e32 v19, v49, v57
	v_sub_f16_e32 v53, v52, v76
	v_add_f16_e32 v78, v19, v53
	v_sub_f16_e32 v84, v8, v93
	v_sub_f16_e32 v53, v8, v89
	v_add_f16_e32 v8, v8, v69
	v_add_f16_e32 v8, v89, v8
	v_sub_f16_e32 v67, v93, v68
	v_add_f16_e32 v8, v68, v8
	v_sub_f16_e32 v83, v89, v68
	v_add_f16_e32 v85, v53, v67
	v_add_f16_e32 v53, v89, v68
	;; [unrolled: 1-line block ×5, first 2 shown]
	v_sub_f16_e32 v77, v49, v52
	v_add_f16_e32 v8, v8, v52
	v_sub_f16_e32 v79, v57, v76
	v_fma_f16 v86, v53, -0.5, v69
	v_add_f16_e32 v69, v8, v76
	v_fma_f16 v8, v77, s4, v82
	v_sub_f16_e32 v67, v57, v49
	v_sub_f16_e32 v88, v76, v52
	v_fma_f16 v8, v79, s10, v8
	v_add_f16_e32 v19, v57, v76
	v_add_f16_e32 v88, v67, v88
	v_add_f16_e32 v67, v49, v52
	v_fma_f16 v52, v94, s6, v8
	v_fma_f16 v8, v79, s4, v86
	v_fma_f16 v81, v19, -0.5, v46
	v_fma_f16 v8, v77, s5, v8
	v_fma_f16 v95, v67, -0.5, v46
	v_fma_f16 v46, v85, s6, v8
	v_fma_f16 v8, v83, s7, v81
	;; [unrolled: 1-line block ×7, first 2 shown]
	v_lshlrev_b32_e32 v8, 2, v14
	v_lshlrev_b64 v[8:9], 2, v[8:9]
	v_fma_f16 v19, v83, s4, v81
	v_add_co_u32_e32 v8, vcc, s8, v8
	v_fma_f16 v12, v77, s7, v82
	v_fma_f16 v19, v84, s10, v19
	;; [unrolled: 1-line block ×3, first 2 shown]
	v_addc_co_u32_e32 v9, vcc, v56, v9, vcc
	v_fma_f16 v12, v79, s5, v12
	v_fma_f16 v19, v78, s6, v19
	;; [unrolled: 1-line block ×3, first 2 shown]
	global_load_dwordx4 v[76:79], v[8:9], off offset:1512
	v_fma_f16 v67, v84, s4, v95
	v_fma_f16 v67, v83, s5, v67
	;; [unrolled: 1-line block ×3, first 2 shown]
	s_waitcnt vmcnt(1)
	v_lshrrev_b32_e32 v14, 16, v74
	ds_read_u16 v88, v16 offset:2420
	v_mul_f16_e32 v89, v74, v91
	v_lshrrev_b32_e32 v8, 16, v72
	v_lshrrev_b32_e32 v9, 16, v73
	;; [unrolled: 1-line block ×3, first 2 shown]
	ds_read_u16 v81, v16 offset:880
	v_mul_f16_e32 v82, v72, v90
	ds_read_u16 v83, v16 offset:1650
	v_mul_f16_e32 v84, v73, v87
	v_mul_f16_e32 v86, v75, v92
	v_fma_f16 v89, v42, v14, v89
	v_mul_f16_e32 v14, v14, v91
	v_fma_f16 v82, v43, v8, v82
	v_fma_f16 v84, v40, v9, v84
	;; [unrolled: 1-line block ×3, first 2 shown]
	v_mul_f16_e32 v9, v9, v87
	v_fma_f16 v14, v42, v74, -v14
	v_mul_f16_e32 v8, v8, v90
	v_mul_f16_e32 v42, v56, v92
	v_fma_f16 v53, v85, s6, v53
	v_sub_f16_e32 v85, v82, v84
	v_sub_f16_e32 v93, v86, v89
	v_fma_f16 v9, v40, v73, -v9
	v_fma_f16 v8, v43, v72, -v8
	;; [unrolled: 1-line block ×3, first 2 shown]
	v_fma_f16 v12, v94, s6, v12
	v_add_f16_e32 v85, v85, v93
	v_sub_f16_e32 v93, v9, v8
	v_sub_f16_e32 v94, v14, v41
	;; [unrolled: 1-line block ×4, first 2 shown]
	v_add_f16_e32 v93, v93, v94
	v_add_f16_e32 v94, v8, v41
	;; [unrolled: 1-line block ×3, first 2 shown]
	v_sub_f16_e32 v73, v41, v14
	v_add_f16_e32 v8, v8, v9
	v_sub_f16_e32 v40, v9, v14
	v_add_f16_e32 v72, v72, v73
	v_add_f16_e32 v73, v9, v14
	;; [unrolled: 1-line block ×3, first 2 shown]
	global_load_dwordx4 v[6:9], v[6:7], off offset:1512
	v_sub_f16_e32 v90, v84, v82
	v_sub_f16_e32 v91, v89, v86
	v_add_f16_e32 v90, v90, v91
	v_add_f16_e32 v91, v82, v86
	;; [unrolled: 1-line block ×3, first 2 shown]
	v_fma_f16 v91, v91, -0.5, v18
	v_fma_f16 v43, v43, -0.5, v18
	v_fma_f16 v92, v40, s7, v91
	v_fma_f16 v91, v40, s4, v91
	;; [unrolled: 1-line block ×3, first 2 shown]
	v_fma_f16 v73, v73, -0.5, v37
	v_sub_f16_e32 v74, v82, v86
	v_fma_f16 v92, v42, s5, v92
	v_fma_f16 v91, v42, s10, v91
	;; [unrolled: 1-line block ×3, first 2 shown]
	v_add_f16_e32 v18, v82, v18
	ds_read_u16 v82, v16 offset:1540
	v_fma_f16 v56, v40, s5, v56
	v_fma_f16 v75, v74, s7, v73
	v_sub_f16_e32 v87, v84, v89
	v_fma_f16 v94, v94, -0.5, v37
	v_fma_f16 v40, v40, s10, v42
	v_fma_f16 v42, v74, s4, v73
	v_add_f16_e32 v18, v84, v18
	v_fma_f16 v75, v87, s10, v75
	v_fma_f16 v92, v90, s6, v92
	v_fma_f16 v95, v87, s4, v94
	v_fma_f16 v90, v90, s6, v91
	v_fma_f16 v91, v87, s7, v94
	v_fma_f16 v42, v87, s5, v42
	v_add_f16_e32 v18, v89, v18
	v_fma_f16 v75, v72, s6, v75
	v_fma_f16 v95, v74, s10, v95
	;; [unrolled: 1-line block ×4, first 2 shown]
	v_add_f16_e32 v43, v86, v18
	v_add_f16_e32 v14, v41, v14
	s_waitcnt vmcnt(1)
	v_lshrrev_b32_e32 v18, 16, v76
	v_lshrrev_b32_e32 v37, 16, v77
	;; [unrolled: 1-line block ×4, first 2 shown]
	ds_read_u16 v73, v16 offset:770
	s_waitcnt lgkmcnt(3)
	v_mul_f16_e32 v74, v76, v81
	s_waitcnt lgkmcnt(2)
	v_mul_f16_e32 v84, v77, v83
	v_mul_f16_e32 v86, v79, v80
	;; [unrolled: 1-line block ×3, first 2 shown]
	v_fma_f16 v74, v38, v18, v74
	v_fma_f16 v84, v33, v37, v84
	;; [unrolled: 1-line block ×4, first 2 shown]
	v_mul_f16_e32 v37, v37, v83
	v_mul_f16_e32 v18, v18, v81
	v_sub_f16_e32 v81, v84, v74
	v_sub_f16_e32 v83, v87, v86
	v_fma_f16 v33, v33, v77, -v37
	v_mul_f16_e32 v37, v41, v88
	v_add_f16_e32 v41, v84, v87
	v_add_f16_e32 v81, v81, v83
	;; [unrolled: 1-line block ×3, first 2 shown]
	ds_read_u16 v16, v16
	v_fma_f16 v41, v41, -0.5, v17
	v_fma_f16 v83, v83, -0.5, v17
	v_add_f16_e32 v17, v74, v17
	v_add_f16_e32 v17, v84, v17
	v_fma_f16 v18, v38, v76, -v18
	v_mul_f16_e32 v38, v72, v80
	v_add_f16_e32 v17, v87, v17
	v_fma_f16 v56, v85, s6, v56
	v_fma_f16 v40, v85, s6, v40
	v_sub_f16_e32 v85, v74, v84
	v_sub_f16_e32 v89, v86, v87
	v_fma_f16 v36, v36, v78, -v37
	v_fma_f16 v30, v30, v79, -v38
	v_sub_f16_e32 v78, v74, v86
	v_add_f16_e32 v74, v86, v17
	v_add_f16_e32 v17, v29, v18
	v_fma_f16 v95, v93, s6, v95
	v_fma_f16 v91, v93, s6, v91
	v_add_f16_e32 v85, v85, v89
	v_sub_f16_e32 v76, v18, v33
	v_sub_f16_e32 v77, v30, v36
	;; [unrolled: 1-line block ×4, first 2 shown]
	v_add_f16_e32 v17, v17, v33
	v_sub_f16_e32 v38, v18, v30
	v_add_f16_e32 v76, v76, v77
	v_add_f16_e32 v77, v33, v36
	;; [unrolled: 1-line block ×5, first 2 shown]
	v_sub_f16_e32 v37, v33, v36
	v_fma_f16 v77, v77, -0.5, v29
	v_fma_f16 v93, v93, -0.5, v29
	v_add_f16_e32 v29, v30, v17
	v_fma_f16 v17, v38, s7, v41
	v_fma_f16 v88, v37, s7, v83
	v_fma_f16 v83, v37, s4, v83
	v_fma_f16 v17, v37, s10, v17
	v_fma_f16 v72, v38, s4, v41
	v_sub_f16_e32 v80, v84, v87
	v_fma_f16 v88, v38, s5, v88
	v_fma_f16 v83, v38, s10, v83
	;; [unrolled: 1-line block ×4, first 2 shown]
	s_waitcnt vmcnt(0)
	v_lshrrev_b32_e32 v18, 16, v7
	s_waitcnt lgkmcnt(2)
	v_mul_f16_e32 v41, v7, v82
	v_fma_f16 v88, v81, s6, v88
	v_fma_f16 v94, v80, s4, v93
	;; [unrolled: 1-line block ×5, first 2 shown]
	v_lshrrev_b32_e32 v36, 16, v8
	v_fma_f16 v41, v25, v18, v41
	v_mul_f16_e32 v18, v18, v82
	v_fma_f16 v72, v37, s5, v72
	v_fma_f16 v79, v78, s7, v77
	;; [unrolled: 1-line block ×5, first 2 shown]
	v_lshrrev_b32_e32 v17, 16, v6
	v_lshrrev_b32_e32 v37, 16, v9
	s_waitcnt lgkmcnt(1)
	v_mul_f16_e32 v38, v6, v73
	v_mul_f16_e32 v77, v9, v71
	v_mul_f16_e32 v78, v8, v70
	v_fma_f16 v18, v25, v7, -v18
	v_mul_f16_e32 v7, v36, v70
	v_fma_f16 v38, v26, v17, v38
	v_fma_f16 v77, v27, v37, v77
	;; [unrolled: 1-line block ×3, first 2 shown]
	v_fma_f16 v25, v28, v8, -v7
	v_mul_f16_e32 v8, v17, v73
	v_fma_f16 v8, v26, v6, -v8
	v_mul_f16_e32 v6, v37, v71
	v_sub_f16_e32 v71, v41, v38
	v_sub_f16_e32 v73, v78, v77
	v_fma_f16 v79, v80, s10, v79
	v_add_f16_e32 v71, v71, v73
	v_add_f16_e32 v73, v38, v77
	v_fma_f16 v79, v76, s6, v79
	v_sub_f16_e32 v76, v38, v41
	v_sub_f16_e32 v80, v77, v78
	;; [unrolled: 1-line block ×3, first 2 shown]
	v_fma_f16 v9, v27, v9, -v6
	v_add_f16_e32 v17, v41, v78
	s_waitcnt lgkmcnt(0)
	v_fma_f16 v73, v73, -0.5, v16
	v_add_f16_e32 v76, v76, v80
	v_sub_f16_e32 v6, v8, v9
	v_fma_f16 v17, v17, -0.5, v16
	v_sub_f16_e32 v27, v8, v18
	v_sub_f16_e32 v28, v9, v25
	v_fma_f16 v80, v7, s7, v73
	v_fma_f16 v73, v7, s4, v73
	;; [unrolled: 1-line block ×3, first 2 shown]
	v_add_f16_e32 v27, v27, v28
	v_add_f16_e32 v28, v18, v25
	v_fma_f16 v80, v6, s5, v80
	v_fma_f16 v73, v6, s10, v73
	;; [unrolled: 1-line block ×4, first 2 shown]
	v_fma_f16 v28, v28, -0.5, v24
	v_sub_f16_e32 v36, v38, v77
	v_fma_f16 v6, v7, s10, v6
	v_fma_f16 v26, v76, s6, v26
	;; [unrolled: 1-line block ×3, first 2 shown]
	v_sub_f16_e32 v70, v41, v78
	v_fma_f16 v76, v76, s6, v6
	v_fma_f16 v6, v36, s4, v28
	;; [unrolled: 1-line block ×6, first 2 shown]
	v_add_f16_e32 v6, v38, v16
	v_add_f16_e32 v16, v41, v6
	v_mad_u64_u32 v[6:7], s[0:1], s2, v10, 0
	v_sub_f16_e32 v82, v18, v8
	v_sub_f16_e32 v84, v25, v9
	v_add_f16_e32 v16, v78, v16
	v_add_f16_e32 v82, v82, v84
	;; [unrolled: 1-line block ×5, first 2 shown]
	v_mad_u64_u32 v[7:8], s[0:1], s3, v10, v[7:8]
	v_add_f16_e32 v8, v16, v18
	v_add_f16_e32 v8, v8, v25
	v_add_u32_e32 v17, 0x181, v10
	v_add_f16_e32 v18, v9, v8
	v_mad_u64_u32 v[8:9], s[0:1], s2, v17, 0
	v_mov_b32_e32 v16, s13
	v_add_co_u32_e32 v4, vcc, s12, v4
	v_addc_co_u32_e32 v5, vcc, v16, v5, vcc
	v_lshlrev_b64 v[6:7], 2, v[6:7]
	v_mad_u64_u32 v[16:17], s[0:1], s3, v17, v[9:10]
	v_add_co_u32_e32 v6, vcc, v4, v6
	v_addc_co_u32_e32 v7, vcc, v5, v7, vcc
	v_pack_b32_f16 v9, v18, v28
	global_store_dword v[6:7], v9, off
	v_mov_b32_e32 v9, v16
	v_add_u32_e32 v16, 0x302, v10
	v_lshlrev_b64 v[6:7], 2, v[8:9]
	v_mad_u64_u32 v[8:9], s[0:1], s2, v16, 0
	v_add_u32_e32 v25, 0x483, v10
	v_add_co_u32_e32 v6, vcc, v4, v6
	v_mad_u64_u32 v[16:17], s[0:1], s3, v16, v[9:10]
	v_mad_u64_u32 v[17:18], s[0:1], s2, v25, 0
	v_fma_f16 v84, v84, -0.5, v24
	v_addc_co_u32_e32 v7, vcc, v5, v7, vcc
	v_pack_b32_f16 v24, v27, v76
	v_mov_b32_e32 v9, v16
	global_store_dword v[6:7], v24, off
	v_lshlrev_b64 v[6:7], 2, v[8:9]
	v_mov_b32_e32 v8, v18
	v_fma_f16 v80, v71, s6, v80
	v_fma_f16 v71, v71, s6, v73
	;; [unrolled: 1-line block ×3, first 2 shown]
	v_mad_u64_u32 v[8:9], s[0:1], s3, v25, v[8:9]
	v_fma_f16 v73, v36, s5, v73
	v_fma_f16 v73, v82, s6, v73
	v_add_co_u32_e32 v6, vcc, v4, v6
	v_addc_co_u32_e32 v7, vcc, v5, v7, vcc
	v_pack_b32_f16 v9, v73, v71
	v_add_u32_e32 v16, 0x604, v10
	global_store_dword v[6:7], v9, off
	v_mov_b32_e32 v18, v8
	v_mad_u64_u32 v[8:9], s[0:1], s2, v16, 0
	v_fma_f16 v72, v85, s6, v72
	v_fma_f16 v85, v70, s4, v84
	v_lshlrev_b64 v[6:7], 2, v[17:18]
	v_mad_u64_u32 v[16:17], s[0:1], s3, v16, v[9:10]
	v_fma_f16 v85, v36, s10, v85
	v_fma_f16 v85, v82, s6, v85
	v_add_co_u32_e32 v6, vcc, v4, v6
	v_addc_co_u32_e32 v7, vcc, v5, v7, vcc
	v_pack_b32_f16 v9, v85, v80
	global_store_dword v[6:7], v9, off
	v_mov_b32_e32 v9, v16
	v_lshlrev_b64 v[6:7], 2, v[8:9]
	v_mad_u64_u32 v[8:9], s[4:5], s2, v11, 0
	v_add_co_u32_e32 v6, vcc, v4, v6
	v_mad_u64_u32 v[16:17], s[4:5], s3, v11, v[9:10]
	v_add_u32_e32 v11, 0x1b8, v10
	v_mad_u64_u32 v[17:18], s[4:5], s2, v11, 0
	v_addc_co_u32_e32 v7, vcc, v5, v7, vcc
	v_pack_b32_f16 v24, v37, v26
	v_mov_b32_e32 v9, v16
	global_store_dword v[6:7], v24, off
	v_lshlrev_b64 v[6:7], 2, v[8:9]
	v_mov_b32_e32 v8, v18
	v_mad_u64_u32 v[8:9], s[4:5], s3, v11, v[8:9]
	v_add_co_u32_e32 v6, vcc, v4, v6
	v_addc_co_u32_e32 v7, vcc, v5, v7, vcc
	v_pack_b32_f16 v9, v29, v74
	v_add_u32_e32 v11, 0x339, v10
	global_store_dword v[6:7], v9, off
	v_mov_b32_e32 v18, v8
	v_mad_u64_u32 v[8:9], s[4:5], s2, v11, 0
	v_lshlrev_b64 v[6:7], 2, v[17:18]
	v_pack_b32_f16 v24, v33, v30
	v_mad_u64_u32 v[16:17], s[4:5], s3, v11, v[9:10]
	v_add_u32_e32 v11, 0x4ba, v10
	v_mad_u64_u32 v[17:18], s[4:5], s2, v11, 0
	v_add_co_u32_e32 v6, vcc, v4, v6
	v_addc_co_u32_e32 v7, vcc, v5, v7, vcc
	v_mov_b32_e32 v9, v16
	global_store_dword v[6:7], v24, off
	v_lshlrev_b64 v[6:7], 2, v[8:9]
	v_mov_b32_e32 v8, v18
	v_mad_u64_u32 v[8:9], s[4:5], s3, v11, v[8:9]
	v_fma_f16 v83, v89, s6, v83
	v_add_co_u32_e32 v6, vcc, v4, v6
	v_addc_co_u32_e32 v7, vcc, v5, v7, vcc
	v_pack_b32_f16 v9, v83, v81
	v_add_u32_e32 v11, 0x63b, v10
	global_store_dword v[6:7], v9, off
	v_mov_b32_e32 v18, v8
	v_mad_u64_u32 v[8:9], s[4:5], s2, v11, 0
	v_lshlrev_b64 v[6:7], 2, v[17:18]
	v_fma_f16 v94, v89, s6, v94
	v_mad_u64_u32 v[16:17], s[4:5], s3, v11, v[9:10]
	v_add_u32_e32 v11, 0x6e, v10
	v_mad_u64_u32 v[17:18], s[4:5], s2, v11, 0
	v_add_co_u32_e32 v6, vcc, v4, v6
	v_addc_co_u32_e32 v7, vcc, v5, v7, vcc
	v_pack_b32_f16 v24, v94, v88
	v_mov_b32_e32 v9, v16
	global_store_dword v[6:7], v24, off
	v_lshlrev_b64 v[6:7], 2, v[8:9]
	v_mov_b32_e32 v8, v18
	v_mad_u64_u32 v[8:9], s[4:5], s3, v11, v[8:9]
	v_add_co_u32_e32 v6, vcc, v4, v6
	v_addc_co_u32_e32 v7, vcc, v5, v7, vcc
	v_pack_b32_f16 v9, v79, v72
	v_add_u32_e32 v11, 0x1ef, v10
	global_store_dword v[6:7], v9, off
	v_mov_b32_e32 v18, v8
	v_mad_u64_u32 v[8:9], s[4:5], s2, v11, 0
	v_lshlrev_b64 v[6:7], 2, v[17:18]
	v_pack_b32_f16 v14, v14, v43
	v_mad_u64_u32 v[16:17], s[4:5], s3, v11, v[9:10]
	v_add_u32_e32 v11, 0x370, v10
	v_mad_u64_u32 v[17:18], s[4:5], s2, v11, 0
	v_add_co_u32_e32 v6, vcc, v4, v6
	v_addc_co_u32_e32 v7, vcc, v5, v7, vcc
	v_mov_b32_e32 v9, v16
	global_store_dword v[6:7], v14, off
	v_lshlrev_b64 v[6:7], 2, v[8:9]
	v_mov_b32_e32 v8, v18
	v_mad_u64_u32 v[8:9], s[4:5], s3, v11, v[8:9]
	v_add_co_u32_e32 v6, vcc, v4, v6
	v_addc_co_u32_e32 v7, vcc, v5, v7, vcc
	v_pack_b32_f16 v9, v42, v40
	v_add_u32_e32 v11, 0x4f1, v10
	global_store_dword v[6:7], v9, off
	v_mov_b32_e32 v18, v8
	v_mad_u64_u32 v[8:9], s[4:5], s2, v11, 0
	v_lshlrev_b64 v[6:7], 2, v[17:18]
	v_pack_b32_f16 v14, v91, v90
	v_mad_u64_u32 v[16:17], s[4:5], s3, v11, v[9:10]
	v_add_u32_e32 v11, 0x672, v10
	v_mad_u64_u32 v[17:18], s[4:5], s2, v11, 0
	v_add_co_u32_e32 v6, vcc, v4, v6
	v_addc_co_u32_e32 v7, vcc, v5, v7, vcc
	;; [unrolled: 19-line block ×4, first 2 shown]
	v_mov_b32_e32 v9, v16
	global_store_dword v[6:7], v14, off
	v_lshlrev_b64 v[6:7], 2, v[8:9]
	v_mov_b32_e32 v8, v18
	v_mad_u64_u32 v[8:9], s[4:5], s3, v11, v[8:9]
	v_add_co_u32_e32 v6, vcc, v4, v6
	v_addc_co_u32_e32 v7, vcc, v5, v7, vcc
	v_pack_b32_f16 v9, v57, v52
	v_mov_b32_e32 v18, v8
	v_add_u32_e32 v11, 0x6a9, v10
	v_add_u32_e32 v16, 0xdc, v10
	s_mov_b32 s1, 0x551c979b
	global_store_dword v[6:7], v9, off
	v_lshlrev_b64 v[6:7], 2, v[17:18]
	v_mad_u64_u32 v[8:9], s[4:5], s2, v11, 0
	v_mul_hi_u32 v17, v16, s1
	s_movk_i32 s0, 0x604
	v_pack_b32_f16 v14, v19, v12
	v_mad_u64_u32 v[11:12], s[4:5], s3, v11, v[9:10]
	v_lshrrev_b32_e32 v9, 7, v17
	v_mad_u32_u24 v18, v9, s0, v16
	v_mad_u64_u32 v[16:17], s[4:5], s2, v18, 0
	v_add_co_u32_e32 v6, vcc, v4, v6
	v_addc_co_u32_e32 v7, vcc, v5, v7, vcc
	v_mov_b32_e32 v9, v11
	global_store_dword v[6:7], v14, off
	v_lshlrev_b64 v[6:7], 2, v[8:9]
	v_mov_b32_e32 v8, v17
	v_mad_u64_u32 v[8:9], s[4:5], s3, v18, v[8:9]
	v_add_co_u32_e32 v6, vcc, v4, v6
	v_addc_co_u32_e32 v7, vcc, v5, v7, vcc
	v_pack_b32_f16 v9, v49, v46
	v_add_u32_e32 v11, 0x181, v18
	global_store_dword v[6:7], v9, off
	v_mov_b32_e32 v17, v8
	v_mad_u64_u32 v[8:9], s[4:5], s2, v11, 0
	v_lshlrev_b64 v[6:7], 2, v[16:17]
	v_pack_b32_f16 v14, v58, v66
	v_mad_u64_u32 v[11:12], s[4:5], s3, v11, v[9:10]
	v_add_u32_e32 v12, 0x302, v18
	v_mad_u64_u32 v[16:17], s[4:5], s2, v12, 0
	v_add_co_u32_e32 v6, vcc, v4, v6
	v_addc_co_u32_e32 v7, vcc, v5, v7, vcc
	v_mov_b32_e32 v9, v11
	global_store_dword v[6:7], v14, off
	v_lshlrev_b64 v[6:7], 2, v[8:9]
	v_mov_b32_e32 v8, v17
	v_mad_u64_u32 v[8:9], s[4:5], s3, v12, v[8:9]
	v_add_co_u32_e32 v6, vcc, v4, v6
	v_addc_co_u32_e32 v7, vcc, v5, v7, vcc
	v_pack_b32_f16 v9, v65, v64
	v_add_u32_e32 v11, 0x483, v18
	global_store_dword v[6:7], v9, off
	v_mov_b32_e32 v17, v8
	v_mad_u64_u32 v[8:9], s[4:5], s2, v11, 0
	v_lshlrev_b64 v[6:7], 2, v[16:17]
	v_pack_b32_f16 v14, v63, v62
	v_mad_u64_u32 v[11:12], s[4:5], s3, v11, v[9:10]
	v_add_u32_e32 v12, 0x604, v18
	v_mad_u64_u32 v[16:17], s[4:5], s2, v12, 0
	v_add_co_u32_e32 v6, vcc, v4, v6
	v_addc_co_u32_e32 v7, vcc, v5, v7, vcc
	v_mov_b32_e32 v9, v11
	global_store_dword v[6:7], v14, off
	v_lshlrev_b64 v[6:7], 2, v[8:9]
	v_mov_b32_e32 v8, v17
	v_mad_u64_u32 v[8:9], s[4:5], s3, v12, v[8:9]
	v_add_co_u32_e32 v6, vcc, v4, v6
	v_addc_co_u32_e32 v7, vcc, v5, v7, vcc
	v_pack_b32_f16 v9, v61, v60
	global_store_dword v[6:7], v9, off
	v_mov_b32_e32 v17, v8
	v_mad_u64_u32 v[8:9], s[4:5], s2, v21, 0
	v_lshlrev_b64 v[6:7], 2, v[16:17]
	v_add_u32_e32 v16, 0x294, v10
	v_mad_u64_u32 v[11:12], s[4:5], s3, v21, v[9:10]
	v_pack_b32_f16 v14, v59, v13
	v_mad_u64_u32 v[12:13], s[4:5], s2, v16, 0
	v_add_co_u32_e32 v6, vcc, v4, v6
	v_addc_co_u32_e32 v7, vcc, v5, v7, vcc
	v_mov_b32_e32 v9, v11
	global_store_dword v[6:7], v14, off
	v_lshlrev_b64 v[6:7], 2, v[8:9]
	v_mov_b32_e32 v8, v13
	v_mad_u64_u32 v[8:9], s[4:5], s3, v16, v[8:9]
	v_add_co_u32_e32 v6, vcc, v4, v6
	v_addc_co_u32_e32 v7, vcc, v5, v7, vcc
	v_pack_b32_f16 v9, v55, v54
	v_add_u32_e32 v11, 0x415, v10
	global_store_dword v[6:7], v9, off
	v_mov_b32_e32 v13, v8
	v_mad_u64_u32 v[8:9], s[4:5], s2, v11, 0
	v_lshlrev_b64 v[6:7], 2, v[12:13]
	v_add_u32_e32 v16, 0x596, v10
	v_mad_u64_u32 v[11:12], s[4:5], s3, v11, v[9:10]
	v_mad_u64_u32 v[12:13], s[4:5], s2, v16, 0
	v_add_co_u32_e32 v6, vcc, v4, v6
	v_addc_co_u32_e32 v7, vcc, v5, v7, vcc
	v_pack_b32_f16 v14, v51, v50
	v_mov_b32_e32 v9, v11
	global_store_dword v[6:7], v14, off
	v_lshlrev_b64 v[6:7], 2, v[8:9]
	v_mov_b32_e32 v8, v13
	v_mad_u64_u32 v[8:9], s[4:5], s3, v16, v[8:9]
	v_add_co_u32_e32 v6, vcc, v4, v6
	v_addc_co_u32_e32 v7, vcc, v5, v7, vcc
	v_pack_b32_f16 v9, v48, v47
	v_add_u32_e32 v10, 0x717, v10
	global_store_dword v[6:7], v9, off
	v_mov_b32_e32 v13, v8
	v_mad_u64_u32 v[8:9], s[4:5], s2, v10, 0
	v_mul_hi_u32 v11, v20, s1
	v_lshlrev_b64 v[6:7], 2, v[12:13]
	v_mad_u64_u32 v[9:10], s[4:5], s3, v10, v[9:10]
	v_lshrrev_b32_e32 v10, 7, v11
	v_mad_u32_u24 v13, v10, s0, v20
	v_mad_u64_u32 v[10:11], s[0:1], s2, v13, 0
	v_add_co_u32_e32 v6, vcc, v4, v6
	v_addc_co_u32_e32 v7, vcc, v5, v7, vcc
	v_pack_b32_f16 v12, v45, v44
	global_store_dword v[6:7], v12, off
	v_lshlrev_b64 v[6:7], 2, v[8:9]
	v_mov_b32_e32 v8, v11
	v_mad_u64_u32 v[8:9], s[0:1], s3, v13, v[8:9]
	v_add_co_u32_e32 v6, vcc, v4, v6
	v_addc_co_u32_e32 v7, vcc, v5, v7, vcc
	v_pack_b32_f16 v9, v39, v15
	v_mov_b32_e32 v11, v8
	global_store_dword v[6:7], v9, off
	v_lshlrev_b64 v[6:7], 2, v[10:11]
	v_add_u32_e32 v10, 0x181, v13
	v_mad_u64_u32 v[8:9], s[0:1], s2, v10, 0
	v_add_u32_e32 v14, 0x302, v13
	v_add_co_u32_e32 v6, vcc, v4, v6
	v_mad_u64_u32 v[9:10], s[0:1], s3, v10, v[9:10]
	v_mad_u64_u32 v[10:11], s[0:1], s2, v14, 0
	v_addc_co_u32_e32 v7, vcc, v5, v7, vcc
	v_pack_b32_f16 v12, v35, v34
	global_store_dword v[6:7], v12, off
	v_lshlrev_b64 v[6:7], 2, v[8:9]
	v_mov_b32_e32 v8, v11
	v_mad_u64_u32 v[8:9], s[0:1], s3, v14, v[8:9]
	v_add_co_u32_e32 v6, vcc, v4, v6
	v_addc_co_u32_e32 v7, vcc, v5, v7, vcc
	v_pack_b32_f16 v9, v32, v31
	v_mov_b32_e32 v11, v8
	global_store_dword v[6:7], v9, off
	v_lshlrev_b64 v[6:7], 2, v[10:11]
	v_add_u32_e32 v10, 0x483, v13
	v_mad_u64_u32 v[8:9], s[0:1], s2, v10, 0
	v_add_u32_e32 v13, 0x604, v13
	v_add_co_u32_e32 v6, vcc, v4, v6
	v_mad_u64_u32 v[9:10], s[0:1], s3, v10, v[9:10]
	v_mad_u64_u32 v[10:11], s[0:1], s2, v13, 0
	v_addc_co_u32_e32 v7, vcc, v5, v7, vcc
	v_pack_b32_f16 v12, v23, v22
	global_store_dword v[6:7], v12, off
	v_lshlrev_b64 v[6:7], 2, v[8:9]
	v_mov_b32_e32 v8, v11
	v_mad_u64_u32 v[8:9], s[0:1], s3, v13, v[8:9]
	v_add_co_u32_e32 v6, vcc, v4, v6
	v_addc_co_u32_e32 v7, vcc, v5, v7, vcc
	v_pack_b32_f16 v2, v3, v2
	v_mov_b32_e32 v11, v8
	global_store_dword v[6:7], v2, off
	v_lshlrev_b64 v[2:3], 2, v[10:11]
	v_pack_b32_f16 v0, v1, v0
	v_add_co_u32_e32 v2, vcc, v4, v2
	v_addc_co_u32_e32 v3, vcc, v5, v3, vcc
	global_store_dword v[2:3], v0, off
.LBB0_23:
	s_endpgm
	.section	.rodata,"a",@progbits
	.p2align	6, 0x0
	.amdhsa_kernel fft_rtc_fwd_len1925_factors_7_11_5_5_wgs_55_tpt_55_halfLds_half_ip_CI_sbrr_dirReg
		.amdhsa_group_segment_fixed_size 0
		.amdhsa_private_segment_fixed_size 0
		.amdhsa_kernarg_size 88
		.amdhsa_user_sgpr_count 6
		.amdhsa_user_sgpr_private_segment_buffer 1
		.amdhsa_user_sgpr_dispatch_ptr 0
		.amdhsa_user_sgpr_queue_ptr 0
		.amdhsa_user_sgpr_kernarg_segment_ptr 1
		.amdhsa_user_sgpr_dispatch_id 0
		.amdhsa_user_sgpr_flat_scratch_init 0
		.amdhsa_user_sgpr_private_segment_size 0
		.amdhsa_uses_dynamic_stack 0
		.amdhsa_system_sgpr_private_segment_wavefront_offset 0
		.amdhsa_system_sgpr_workgroup_id_x 1
		.amdhsa_system_sgpr_workgroup_id_y 0
		.amdhsa_system_sgpr_workgroup_id_z 0
		.amdhsa_system_sgpr_workgroup_info 0
		.amdhsa_system_vgpr_workitem_id 0
		.amdhsa_next_free_vgpr 164
		.amdhsa_next_free_sgpr 24
		.amdhsa_reserve_vcc 1
		.amdhsa_reserve_flat_scratch 0
		.amdhsa_float_round_mode_32 0
		.amdhsa_float_round_mode_16_64 0
		.amdhsa_float_denorm_mode_32 3
		.amdhsa_float_denorm_mode_16_64 3
		.amdhsa_dx10_clamp 1
		.amdhsa_ieee_mode 1
		.amdhsa_fp16_overflow 0
		.amdhsa_exception_fp_ieee_invalid_op 0
		.amdhsa_exception_fp_denorm_src 0
		.amdhsa_exception_fp_ieee_div_zero 0
		.amdhsa_exception_fp_ieee_overflow 0
		.amdhsa_exception_fp_ieee_underflow 0
		.amdhsa_exception_fp_ieee_inexact 0
		.amdhsa_exception_int_div_zero 0
	.end_amdhsa_kernel
	.text
.Lfunc_end0:
	.size	fft_rtc_fwd_len1925_factors_7_11_5_5_wgs_55_tpt_55_halfLds_half_ip_CI_sbrr_dirReg, .Lfunc_end0-fft_rtc_fwd_len1925_factors_7_11_5_5_wgs_55_tpt_55_halfLds_half_ip_CI_sbrr_dirReg
                                        ; -- End function
	.section	.AMDGPU.csdata,"",@progbits
; Kernel info:
; codeLenInByte = 28232
; NumSgprs: 28
; NumVgprs: 164
; ScratchSize: 0
; MemoryBound: 0
; FloatMode: 240
; IeeeMode: 1
; LDSByteSize: 0 bytes/workgroup (compile time only)
; SGPRBlocks: 3
; VGPRBlocks: 40
; NumSGPRsForWavesPerEU: 28
; NumVGPRsForWavesPerEU: 164
; Occupancy: 1
; WaveLimiterHint : 1
; COMPUTE_PGM_RSRC2:SCRATCH_EN: 0
; COMPUTE_PGM_RSRC2:USER_SGPR: 6
; COMPUTE_PGM_RSRC2:TRAP_HANDLER: 0
; COMPUTE_PGM_RSRC2:TGID_X_EN: 1
; COMPUTE_PGM_RSRC2:TGID_Y_EN: 0
; COMPUTE_PGM_RSRC2:TGID_Z_EN: 0
; COMPUTE_PGM_RSRC2:TIDIG_COMP_CNT: 0
	.type	__hip_cuid_14c1287851c544c6,@object ; @__hip_cuid_14c1287851c544c6
	.section	.bss,"aw",@nobits
	.globl	__hip_cuid_14c1287851c544c6
__hip_cuid_14c1287851c544c6:
	.byte	0                               ; 0x0
	.size	__hip_cuid_14c1287851c544c6, 1

	.ident	"AMD clang version 19.0.0git (https://github.com/RadeonOpenCompute/llvm-project roc-6.4.0 25133 c7fe45cf4b819c5991fe208aaa96edf142730f1d)"
	.section	".note.GNU-stack","",@progbits
	.addrsig
	.addrsig_sym __hip_cuid_14c1287851c544c6
	.amdgpu_metadata
---
amdhsa.kernels:
  - .args:
      - .actual_access:  read_only
        .address_space:  global
        .offset:         0
        .size:           8
        .value_kind:     global_buffer
      - .offset:         8
        .size:           8
        .value_kind:     by_value
      - .actual_access:  read_only
        .address_space:  global
        .offset:         16
        .size:           8
        .value_kind:     global_buffer
      - .actual_access:  read_only
        .address_space:  global
        .offset:         24
        .size:           8
        .value_kind:     global_buffer
      - .offset:         32
        .size:           8
        .value_kind:     by_value
      - .actual_access:  read_only
        .address_space:  global
        .offset:         40
        .size:           8
        .value_kind:     global_buffer
      - .actual_access:  read_only
        .address_space:  global
        .offset:         48
        .size:           8
        .value_kind:     global_buffer
      - .offset:         56
        .size:           4
        .value_kind:     by_value
      - .actual_access:  read_only
        .address_space:  global
        .offset:         64
        .size:           8
        .value_kind:     global_buffer
      - .actual_access:  read_only
        .address_space:  global
        .offset:         72
        .size:           8
        .value_kind:     global_buffer
      - .address_space:  global
        .offset:         80
        .size:           8
        .value_kind:     global_buffer
    .group_segment_fixed_size: 0
    .kernarg_segment_align: 8
    .kernarg_segment_size: 88
    .language:       OpenCL C
    .language_version:
      - 2
      - 0
    .max_flat_workgroup_size: 55
    .name:           fft_rtc_fwd_len1925_factors_7_11_5_5_wgs_55_tpt_55_halfLds_half_ip_CI_sbrr_dirReg
    .private_segment_fixed_size: 0
    .sgpr_count:     28
    .sgpr_spill_count: 0
    .symbol:         fft_rtc_fwd_len1925_factors_7_11_5_5_wgs_55_tpt_55_halfLds_half_ip_CI_sbrr_dirReg.kd
    .uniform_work_group_size: 1
    .uses_dynamic_stack: false
    .vgpr_count:     164
    .vgpr_spill_count: 0
    .wavefront_size: 64
amdhsa.target:   amdgcn-amd-amdhsa--gfx906
amdhsa.version:
  - 1
  - 2
...

	.end_amdgpu_metadata
